;; amdgpu-corpus repo=ROCm/rocFFT kind=compiled arch=gfx1201 opt=O3
	.text
	.amdgcn_target "amdgcn-amd-amdhsa--gfx1201"
	.amdhsa_code_object_version 6
	.protected	fft_rtc_fwd_len1575_factors_3_3_5_7_5_wgs_63_tpt_63_halfLds_sp_ip_CI_sbrr_dirReg ; -- Begin function fft_rtc_fwd_len1575_factors_3_3_5_7_5_wgs_63_tpt_63_halfLds_sp_ip_CI_sbrr_dirReg
	.globl	fft_rtc_fwd_len1575_factors_3_3_5_7_5_wgs_63_tpt_63_halfLds_sp_ip_CI_sbrr_dirReg
	.p2align	8
	.type	fft_rtc_fwd_len1575_factors_3_3_5_7_5_wgs_63_tpt_63_halfLds_sp_ip_CI_sbrr_dirReg,@function
fft_rtc_fwd_len1575_factors_3_3_5_7_5_wgs_63_tpt_63_halfLds_sp_ip_CI_sbrr_dirReg: ; @fft_rtc_fwd_len1575_factors_3_3_5_7_5_wgs_63_tpt_63_halfLds_sp_ip_CI_sbrr_dirReg
; %bb.0:
	s_clause 0x2
	s_load_b64 s[12:13], s[0:1], 0x18
	s_load_b128 s[4:7], s[0:1], 0x0
	s_load_b64 s[10:11], s[0:1], 0x50
	v_mul_u32_u24_e32 v1, 0x411, v0
	v_mov_b32_e32 v3, 0
	s_delay_alu instid0(VALU_DEP_2) | instskip(NEXT) | instid1(VALU_DEP_1)
	v_lshrrev_b32_e32 v1, 16, v1
	v_add_nc_u32_e32 v5, ttmp9, v1
	v_mov_b32_e32 v1, 0
	v_mov_b32_e32 v2, 0
	;; [unrolled: 1-line block ×3, first 2 shown]
	s_wait_kmcnt 0x0
	s_load_b64 s[8:9], s[12:13], 0x0
	v_cmp_lt_u64_e64 s2, s[6:7], 2
	s_delay_alu instid0(VALU_DEP_1)
	s_and_b32 vcc_lo, exec_lo, s2
	s_cbranch_vccnz .LBB0_8
; %bb.1:
	s_load_b64 s[2:3], s[0:1], 0x10
	v_mov_b32_e32 v1, 0
	v_mov_b32_e32 v2, 0
	s_add_nc_u64 s[14:15], s[12:13], 8
	s_mov_b64 s[16:17], 1
	s_wait_kmcnt 0x0
	s_add_nc_u64 s[18:19], s[2:3], 8
	s_mov_b32 s3, 0
.LBB0_2:                                ; =>This Inner Loop Header: Depth=1
	s_load_b64 s[20:21], s[18:19], 0x0
                                        ; implicit-def: $vgpr7_vgpr8
	s_mov_b32 s2, exec_lo
	s_wait_kmcnt 0x0
	v_or_b32_e32 v4, s21, v6
	s_delay_alu instid0(VALU_DEP_1)
	v_cmpx_ne_u64_e32 0, v[3:4]
	s_wait_alu 0xfffe
	s_xor_b32 s22, exec_lo, s2
	s_cbranch_execz .LBB0_4
; %bb.3:                                ;   in Loop: Header=BB0_2 Depth=1
	s_cvt_f32_u32 s2, s20
	s_cvt_f32_u32 s23, s21
	s_sub_nc_u64 s[26:27], 0, s[20:21]
	s_wait_alu 0xfffe
	s_delay_alu instid0(SALU_CYCLE_1) | instskip(SKIP_1) | instid1(SALU_CYCLE_2)
	s_fmamk_f32 s2, s23, 0x4f800000, s2
	s_wait_alu 0xfffe
	v_s_rcp_f32 s2, s2
	s_delay_alu instid0(TRANS32_DEP_1) | instskip(SKIP_1) | instid1(SALU_CYCLE_2)
	s_mul_f32 s2, s2, 0x5f7ffffc
	s_wait_alu 0xfffe
	s_mul_f32 s23, s2, 0x2f800000
	s_wait_alu 0xfffe
	s_delay_alu instid0(SALU_CYCLE_2) | instskip(SKIP_1) | instid1(SALU_CYCLE_2)
	s_trunc_f32 s23, s23
	s_wait_alu 0xfffe
	s_fmamk_f32 s2, s23, 0xcf800000, s2
	s_cvt_u32_f32 s25, s23
	s_wait_alu 0xfffe
	s_delay_alu instid0(SALU_CYCLE_1) | instskip(SKIP_1) | instid1(SALU_CYCLE_2)
	s_cvt_u32_f32 s24, s2
	s_wait_alu 0xfffe
	s_mul_u64 s[28:29], s[26:27], s[24:25]
	s_wait_alu 0xfffe
	s_mul_hi_u32 s31, s24, s29
	s_mul_i32 s30, s24, s29
	s_mul_hi_u32 s2, s24, s28
	s_mul_i32 s33, s25, s28
	s_wait_alu 0xfffe
	s_add_nc_u64 s[30:31], s[2:3], s[30:31]
	s_mul_hi_u32 s23, s25, s28
	s_mul_hi_u32 s34, s25, s29
	s_add_co_u32 s2, s30, s33
	s_wait_alu 0xfffe
	s_add_co_ci_u32 s2, s31, s23
	s_mul_i32 s28, s25, s29
	s_add_co_ci_u32 s29, s34, 0
	s_wait_alu 0xfffe
	s_add_nc_u64 s[28:29], s[2:3], s[28:29]
	s_wait_alu 0xfffe
	v_add_co_u32 v4, s2, s24, s28
	s_delay_alu instid0(VALU_DEP_1) | instskip(SKIP_1) | instid1(VALU_DEP_1)
	s_cmp_lg_u32 s2, 0
	s_add_co_ci_u32 s25, s25, s29
	v_readfirstlane_b32 s24, v4
	s_wait_alu 0xfffe
	s_delay_alu instid0(VALU_DEP_1)
	s_mul_u64 s[26:27], s[26:27], s[24:25]
	s_wait_alu 0xfffe
	s_mul_hi_u32 s29, s24, s27
	s_mul_i32 s28, s24, s27
	s_mul_hi_u32 s2, s24, s26
	s_mul_i32 s30, s25, s26
	s_wait_alu 0xfffe
	s_add_nc_u64 s[28:29], s[2:3], s[28:29]
	s_mul_hi_u32 s23, s25, s26
	s_mul_hi_u32 s24, s25, s27
	s_wait_alu 0xfffe
	s_add_co_u32 s2, s28, s30
	s_add_co_ci_u32 s2, s29, s23
	s_mul_i32 s26, s25, s27
	s_add_co_ci_u32 s27, s24, 0
	s_wait_alu 0xfffe
	s_add_nc_u64 s[26:27], s[2:3], s[26:27]
	s_wait_alu 0xfffe
	v_add_co_u32 v4, s2, v4, s26
	s_delay_alu instid0(VALU_DEP_1) | instskip(SKIP_1) | instid1(VALU_DEP_1)
	s_cmp_lg_u32 s2, 0
	s_add_co_ci_u32 s2, s25, s27
	v_mul_hi_u32 v13, v5, v4
	s_wait_alu 0xfffe
	v_mad_co_u64_u32 v[7:8], null, v5, s2, 0
	v_mad_co_u64_u32 v[9:10], null, v6, v4, 0
	;; [unrolled: 1-line block ×3, first 2 shown]
	s_delay_alu instid0(VALU_DEP_3) | instskip(SKIP_1) | instid1(VALU_DEP_4)
	v_add_co_u32 v4, vcc_lo, v13, v7
	s_wait_alu 0xfffd
	v_add_co_ci_u32_e32 v7, vcc_lo, 0, v8, vcc_lo
	s_delay_alu instid0(VALU_DEP_2) | instskip(SKIP_1) | instid1(VALU_DEP_2)
	v_add_co_u32 v4, vcc_lo, v4, v9
	s_wait_alu 0xfffd
	v_add_co_ci_u32_e32 v4, vcc_lo, v7, v10, vcc_lo
	s_wait_alu 0xfffd
	v_add_co_ci_u32_e32 v7, vcc_lo, 0, v12, vcc_lo
	s_delay_alu instid0(VALU_DEP_2) | instskip(SKIP_1) | instid1(VALU_DEP_2)
	v_add_co_u32 v4, vcc_lo, v4, v11
	s_wait_alu 0xfffd
	v_add_co_ci_u32_e32 v9, vcc_lo, 0, v7, vcc_lo
	s_delay_alu instid0(VALU_DEP_2) | instskip(SKIP_1) | instid1(VALU_DEP_3)
	v_mul_lo_u32 v10, s21, v4
	v_mad_co_u64_u32 v[7:8], null, s20, v4, 0
	v_mul_lo_u32 v11, s20, v9
	s_delay_alu instid0(VALU_DEP_2) | instskip(NEXT) | instid1(VALU_DEP_2)
	v_sub_co_u32 v7, vcc_lo, v5, v7
	v_add3_u32 v8, v8, v11, v10
	s_delay_alu instid0(VALU_DEP_1) | instskip(SKIP_1) | instid1(VALU_DEP_1)
	v_sub_nc_u32_e32 v10, v6, v8
	s_wait_alu 0xfffd
	v_subrev_co_ci_u32_e64 v10, s2, s21, v10, vcc_lo
	v_add_co_u32 v11, s2, v4, 2
	s_wait_alu 0xf1ff
	v_add_co_ci_u32_e64 v12, s2, 0, v9, s2
	v_sub_co_u32 v13, s2, v7, s20
	v_sub_co_ci_u32_e32 v8, vcc_lo, v6, v8, vcc_lo
	s_wait_alu 0xf1ff
	v_subrev_co_ci_u32_e64 v10, s2, 0, v10, s2
	s_delay_alu instid0(VALU_DEP_3) | instskip(NEXT) | instid1(VALU_DEP_3)
	v_cmp_le_u32_e32 vcc_lo, s20, v13
	v_cmp_eq_u32_e64 s2, s21, v8
	s_wait_alu 0xfffd
	v_cndmask_b32_e64 v13, 0, -1, vcc_lo
	v_cmp_le_u32_e32 vcc_lo, s21, v10
	s_wait_alu 0xfffd
	v_cndmask_b32_e64 v14, 0, -1, vcc_lo
	v_cmp_le_u32_e32 vcc_lo, s20, v7
	;; [unrolled: 3-line block ×3, first 2 shown]
	s_wait_alu 0xfffd
	v_cndmask_b32_e64 v15, 0, -1, vcc_lo
	v_cmp_eq_u32_e32 vcc_lo, s21, v10
	s_wait_alu 0xf1ff
	s_delay_alu instid0(VALU_DEP_2)
	v_cndmask_b32_e64 v7, v15, v7, s2
	s_wait_alu 0xfffd
	v_cndmask_b32_e32 v10, v14, v13, vcc_lo
	v_add_co_u32 v13, vcc_lo, v4, 1
	s_wait_alu 0xfffd
	v_add_co_ci_u32_e32 v14, vcc_lo, 0, v9, vcc_lo
	s_delay_alu instid0(VALU_DEP_3) | instskip(SKIP_2) | instid1(VALU_DEP_3)
	v_cmp_ne_u32_e32 vcc_lo, 0, v10
	s_wait_alu 0xfffd
	v_cndmask_b32_e32 v10, v13, v11, vcc_lo
	v_cndmask_b32_e32 v8, v14, v12, vcc_lo
	v_cmp_ne_u32_e32 vcc_lo, 0, v7
	s_wait_alu 0xfffd
	s_delay_alu instid0(VALU_DEP_2)
	v_dual_cndmask_b32 v7, v4, v10 :: v_dual_cndmask_b32 v8, v9, v8
.LBB0_4:                                ;   in Loop: Header=BB0_2 Depth=1
	s_wait_alu 0xfffe
	s_and_not1_saveexec_b32 s2, s22
	s_cbranch_execz .LBB0_6
; %bb.5:                                ;   in Loop: Header=BB0_2 Depth=1
	v_cvt_f32_u32_e32 v4, s20
	s_sub_co_i32 s22, 0, s20
	s_delay_alu instid0(VALU_DEP_1) | instskip(NEXT) | instid1(TRANS32_DEP_1)
	v_rcp_iflag_f32_e32 v4, v4
	v_mul_f32_e32 v4, 0x4f7ffffe, v4
	s_delay_alu instid0(VALU_DEP_1) | instskip(SKIP_1) | instid1(VALU_DEP_1)
	v_cvt_u32_f32_e32 v4, v4
	s_wait_alu 0xfffe
	v_mul_lo_u32 v7, s22, v4
	s_delay_alu instid0(VALU_DEP_1) | instskip(NEXT) | instid1(VALU_DEP_1)
	v_mul_hi_u32 v7, v4, v7
	v_add_nc_u32_e32 v4, v4, v7
	s_delay_alu instid0(VALU_DEP_1) | instskip(NEXT) | instid1(VALU_DEP_1)
	v_mul_hi_u32 v4, v5, v4
	v_mul_lo_u32 v7, v4, s20
	v_add_nc_u32_e32 v8, 1, v4
	s_delay_alu instid0(VALU_DEP_2) | instskip(NEXT) | instid1(VALU_DEP_1)
	v_sub_nc_u32_e32 v7, v5, v7
	v_subrev_nc_u32_e32 v9, s20, v7
	v_cmp_le_u32_e32 vcc_lo, s20, v7
	s_wait_alu 0xfffd
	s_delay_alu instid0(VALU_DEP_2) | instskip(NEXT) | instid1(VALU_DEP_1)
	v_dual_cndmask_b32 v7, v7, v9 :: v_dual_cndmask_b32 v4, v4, v8
	v_cmp_le_u32_e32 vcc_lo, s20, v7
	s_delay_alu instid0(VALU_DEP_2) | instskip(SKIP_1) | instid1(VALU_DEP_1)
	v_add_nc_u32_e32 v8, 1, v4
	s_wait_alu 0xfffd
	v_dual_cndmask_b32 v7, v4, v8 :: v_dual_mov_b32 v8, v3
.LBB0_6:                                ;   in Loop: Header=BB0_2 Depth=1
	s_wait_alu 0xfffe
	s_or_b32 exec_lo, exec_lo, s2
	s_load_b64 s[22:23], s[14:15], 0x0
	s_delay_alu instid0(VALU_DEP_1)
	v_mul_lo_u32 v4, v8, s20
	v_mul_lo_u32 v11, v7, s21
	v_mad_co_u64_u32 v[9:10], null, v7, s20, 0
	s_add_nc_u64 s[16:17], s[16:17], 1
	s_add_nc_u64 s[14:15], s[14:15], 8
	s_wait_alu 0xfffe
	v_cmp_ge_u64_e64 s2, s[16:17], s[6:7]
	s_add_nc_u64 s[18:19], s[18:19], 8
	s_delay_alu instid0(VALU_DEP_2) | instskip(NEXT) | instid1(VALU_DEP_3)
	v_add3_u32 v4, v10, v11, v4
	v_sub_co_u32 v5, vcc_lo, v5, v9
	s_wait_alu 0xfffd
	s_delay_alu instid0(VALU_DEP_2) | instskip(SKIP_3) | instid1(VALU_DEP_2)
	v_sub_co_ci_u32_e32 v4, vcc_lo, v6, v4, vcc_lo
	s_and_b32 vcc_lo, exec_lo, s2
	s_wait_kmcnt 0x0
	v_mul_lo_u32 v6, s23, v5
	v_mul_lo_u32 v4, s22, v4
	v_mad_co_u64_u32 v[1:2], null, s22, v5, v[1:2]
	s_delay_alu instid0(VALU_DEP_1)
	v_add3_u32 v2, v6, v2, v4
	s_wait_alu 0xfffe
	s_cbranch_vccnz .LBB0_9
; %bb.7:                                ;   in Loop: Header=BB0_2 Depth=1
	v_dual_mov_b32 v5, v7 :: v_dual_mov_b32 v6, v8
	s_branch .LBB0_2
.LBB0_8:
	v_dual_mov_b32 v8, v6 :: v_dual_mov_b32 v7, v5
.LBB0_9:
	s_lshl_b64 s[2:3], s[6:7], 3
	v_mul_hi_u32 v3, 0x4104105, v0
	s_wait_alu 0xfffe
	s_add_nc_u64 s[2:3], s[12:13], s[2:3]
	s_load_b64 s[0:1], s[0:1], 0x20
	s_load_b64 s[2:3], s[2:3], 0x0
                                        ; implicit-def: $vgpr80
                                        ; implicit-def: $vgpr81
                                        ; implicit-def: $vgpr82
                                        ; implicit-def: $vgpr83
                                        ; implicit-def: $vgpr87
                                        ; implicit-def: $vgpr86
                                        ; implicit-def: $vgpr85
	s_delay_alu instid0(VALU_DEP_1) | instskip(NEXT) | instid1(VALU_DEP_1)
	v_mul_u32_u24_e32 v3, 63, v3
	v_sub_nc_u32_e32 v73, v0, v3
	s_delay_alu instid0(VALU_DEP_1)
	v_add_nc_u32_e32 v78, 63, v73
	v_add_nc_u32_e32 v76, 0x7e, v73
	;; [unrolled: 1-line block ×4, first 2 shown]
	s_wait_kmcnt 0x0
	v_cmp_gt_u64_e32 vcc_lo, s[0:1], v[7:8]
	v_mul_lo_u32 v3, s2, v8
	v_mul_lo_u32 v4, s3, v7
	v_mad_co_u64_u32 v[0:1], null, s2, v7, v[1:2]
	v_cmp_le_u64_e64 s0, s[0:1], v[7:8]
	v_add_nc_u32_e32 v79, 0x13b, v73
	v_add_nc_u32_e32 v77, 0x17a, v73
	;; [unrolled: 1-line block ×3, first 2 shown]
	v_add3_u32 v1, v4, v1, v3
	s_and_saveexec_b32 s1, s0
	s_wait_alu 0xfffe
	s_xor_b32 s0, exec_lo, s1
; %bb.10:
	v_add_nc_u32_e32 v80, 63, v73
	v_add_nc_u32_e32 v81, 0x7e, v73
	;; [unrolled: 1-line block ×7, first 2 shown]
; %bb.11:
	s_wait_alu 0xfffe
	s_or_saveexec_b32 s1, s0
	v_lshlrev_b64_e32 v[0:1], 3, v[0:1]
                                        ; implicit-def: $vgpr5
                                        ; implicit-def: $vgpr13
                                        ; implicit-def: $vgpr11
                                        ; implicit-def: $vgpr35
                                        ; implicit-def: $vgpr33
                                        ; implicit-def: $vgpr45
                                        ; implicit-def: $vgpr15
                                        ; implicit-def: $vgpr43
                                        ; implicit-def: $vgpr49
                                        ; implicit-def: $vgpr39
                                        ; implicit-def: $vgpr61
                                        ; implicit-def: $vgpr53
                                        ; implicit-def: $vgpr55
                                        ; implicit-def: $vgpr59
                                        ; implicit-def: $vgpr57
                                        ; implicit-def: $vgpr71
                                        ; implicit-def: $vgpr69
                                        ; implicit-def: $vgpr3
                                        ; implicit-def: $vgpr63
                                        ; implicit-def: $vgpr65
                                        ; implicit-def: $vgpr67
                                        ; implicit-def: $vgpr51
                                        ; implicit-def: $vgpr41
                                        ; implicit-def: $vgpr47
                                        ; implicit-def: $vgpr9
                                        ; implicit-def: $vgpr37
                                        ; implicit-def: $vgpr7
	s_wait_alu 0xfffe
	s_xor_b32 exec_lo, exec_lo, s1
	s_cbranch_execz .LBB0_15
; %bb.12:
	v_mad_co_u64_u32 v[4:5], null, s8, v73, 0
	v_add_nc_u32_e32 v12, 0x20d, v73
	v_mad_co_u64_u32 v[10:11], null, s8, v78, 0
	v_add_nc_u32_e32 v23, 0x459, v73
	v_mad_co_u64_u32 v[19:20], null, s8, v76, 0
	s_delay_alu instid0(VALU_DEP_4) | instskip(SKIP_1) | instid1(VALU_DEP_4)
	v_mad_co_u64_u32 v[6:7], null, s8, v12, 0
	v_mov_b32_e32 v2, v5
	v_mad_co_u64_u32 v[17:18], null, s8, v23, 0
	v_add_nc_u32_e32 v30, 0x2ca, v73
	v_mad_co_u64_u32 v[38:39], null, s8, v79, 0
	s_delay_alu instid0(VALU_DEP_4)
	v_mad_co_u64_u32 v[2:3], null, s9, v73, v[2:3]
	v_dual_mov_b32 v3, v7 :: v_dual_add_nc_u32 v14, 0x41a, v73
	s_mov_b32 s2, exec_lo
                                        ; implicit-def: $vgpr68
                                        ; implicit-def: $vgpr70
	v_add_nc_u32_e32 v27, 0x498, v73
	v_add_nc_u32_e32 v26, 0x28b, v73
	;; [unrolled: 1-line block ×3, first 2 shown]
	v_mov_b32_e32 v5, v2
	v_mad_co_u64_u32 v[8:9], null, s8, v14, 0
	v_mad_co_u64_u32 v[12:13], null, s9, v12, v[3:4]
	v_mov_b32_e32 v2, v11
	v_add_co_u32 v3, s0, s10, v0
	v_lshlrev_b64_e32 v[4:5], 3, v[4:5]
	s_wait_alu 0xf1ff
	v_add_co_ci_u32_e64 v16, s0, s11, v1, s0
	v_mov_b32_e32 v7, v12
	v_mad_co_u64_u32 v[12:13], null, s9, v14, v[9:10]
	v_add_nc_u32_e32 v13, 0x24c, v73
	v_add_co_u32 v4, s0, v3, v4
	s_delay_alu instid0(VALU_DEP_4)
	v_lshlrev_b64_e32 v[6:7], 3, v[6:7]
	s_wait_alu 0xf1ff
	v_add_co_ci_u32_e64 v5, s0, v16, v5, s0
	v_mad_co_u64_u32 v[14:15], null, s8, v13, 0
	v_mov_b32_e32 v9, v12
	v_mad_co_u64_u32 v[11:12], null, s9, v78, v[2:3]
	v_add_co_u32 v6, s0, v3, v6
	s_wait_alu 0xf1ff
	v_add_co_ci_u32_e64 v7, s0, v16, v7, s0
	v_mov_b32_e32 v2, v15
	v_lshlrev_b64_e32 v[8:9], 3, v[8:9]
	v_lshlrev_b64_e32 v[10:11], 3, v[10:11]
	v_mad_co_u64_u32 v[28:29], null, s8, v31, 0
	s_delay_alu instid0(VALU_DEP_4) | instskip(SKIP_4) | instid1(VALU_DEP_3)
	v_mad_co_u64_u32 v[12:13], null, s9, v13, v[2:3]
	v_mov_b32_e32 v2, v18
	v_add_co_u32 v8, s0, v3, v8
	s_wait_alu 0xf1ff
	v_add_co_ci_u32_e64 v9, s0, v16, v9, s0
	v_mad_co_u64_u32 v[23:24], null, s9, v23, v[2:3]
	v_mov_b32_e32 v15, v12
	v_mad_co_u64_u32 v[24:25], null, s8, v26, 0
	v_mov_b32_e32 v2, v20
	v_add_co_u32 v21, s0, v3, v10
	s_wait_alu 0xf1ff
	v_add_co_ci_u32_e64 v22, s0, v16, v11, s0
	s_clause 0x3
	global_load_b64 v[4:5], v[4:5], off
	global_load_b64 v[12:13], v[6:7], off
	;; [unrolled: 1-line block ×4, first 2 shown]
	v_lshlrev_b64_e32 v[8:9], 3, v[14:15]
	v_mad_co_u64_u32 v[14:15], null, s9, v76, v[2:3]
	v_mov_b32_e32 v2, v25
	s_delay_alu instid0(VALU_DEP_3) | instskip(NEXT) | instid1(VALU_DEP_2)
	v_add_co_u32 v8, s0, v3, v8
	v_mad_co_u64_u32 v[21:22], null, s9, v26, v[2:3]
	v_mov_b32_e32 v18, v23
	v_mad_co_u64_u32 v[22:23], null, s8, v27, 0
	v_mov_b32_e32 v20, v14
	s_wait_alu 0xf1ff
	v_add_co_ci_u32_e64 v9, s0, v16, v9, s0
	v_mov_b32_e32 v25, v21
	v_lshlrev_b64_e32 v[17:18], 3, v[17:18]
	v_mov_b32_e32 v2, v23
	s_delay_alu instid0(VALU_DEP_3) | instskip(NEXT) | instid1(VALU_DEP_3)
	v_lshlrev_b64_e32 v[23:24], 3, v[24:25]
	v_add_co_u32 v14, s0, v3, v17
	s_wait_alu 0xf1ff
	s_delay_alu instid0(VALU_DEP_4) | instskip(SKIP_4) | instid1(VALU_DEP_4)
	v_add_co_ci_u32_e64 v15, s0, v16, v18, s0
	v_lshlrev_b64_e32 v[17:18], 3, v[19:20]
	v_mad_co_u64_u32 v[19:20], null, s8, v74, 0
	v_mad_co_u64_u32 v[25:26], null, s9, v27, v[2:3]
	;; [unrolled: 1-line block ×3, first 2 shown]
	v_add_co_u32 v17, s0, v3, v17
	s_delay_alu instid0(VALU_DEP_4)
	v_mov_b32_e32 v2, v20
	s_wait_alu 0xf1ff
	v_add_co_ci_u32_e64 v18, s0, v16, v18, s0
	v_add_co_u32 v20, s0, v3, v23
	s_wait_alu 0xf1ff
	v_add_co_ci_u32_e64 v21, s0, v16, v24, s0
	v_mov_b32_e32 v23, v25
	v_mad_co_u64_u32 v[24:25], null, s9, v74, v[2:3]
	v_mov_b32_e32 v2, v27
	s_clause 0x3
	global_load_b64 v[34:35], v[8:9], off
	global_load_b64 v[36:37], v[14:15], off
	;; [unrolled: 1-line block ×4, first 2 shown]
	v_lshlrev_b64_e32 v[14:15], 3, v[22:23]
	v_mad_co_u64_u32 v[17:18], null, s9, v30, v[2:3]
	v_mov_b32_e32 v2, v29
	v_mov_b32_e32 v20, v24
	v_add_nc_u32_e32 v30, 0x309, v73
	v_add_co_u32 v14, s0, v3, v14
	s_delay_alu instid0(VALU_DEP_4)
	v_mad_co_u64_u32 v[21:22], null, s9, v31, v[2:3]
	v_mad_co_u64_u32 v[22:23], null, s8, v72, 0
	v_lshlrev_b64_e32 v[18:19], 3, v[19:20]
	v_mov_b32_e32 v27, v17
	v_mad_co_u64_u32 v[24:25], null, s8, v30, 0
	s_wait_alu 0xf1ff
	v_add_co_ci_u32_e64 v15, s0, v16, v15, s0
	v_mov_b32_e32 v29, v21
	v_add_co_u32 v17, s0, v3, v18
	v_mov_b32_e32 v2, v23
	s_wait_alu 0xf1ff
	v_add_co_ci_u32_e64 v18, s0, v16, v19, s0
	v_lshlrev_b64_e32 v[19:20], 3, v[26:27]
	v_mov_b32_e32 v21, v25
	v_lshlrev_b64_e32 v[25:26], 3, v[28:29]
	v_mad_co_u64_u32 v[27:28], null, s9, v72, v[2:3]
	v_add_nc_u32_e32 v31, 0x516, v73
	v_add_co_u32 v19, s0, v3, v19
	v_mad_co_u64_u32 v[28:29], null, s9, v30, v[21:22]
	s_wait_alu 0xf1ff
	v_add_co_ci_u32_e64 v20, s0, v16, v20, s0
	v_add_co_u32 v29, s0, v3, v25
	s_wait_alu 0xf1ff
	v_add_co_ci_u32_e64 v30, s0, v16, v26, s0
	v_mov_b32_e32 v23, v27
	v_mad_co_u64_u32 v[26:27], null, s8, v31, 0
	s_clause 0x3
	global_load_b64 v[44:45], v[14:15], off
	global_load_b64 v[14:15], v[17:18], off
	;; [unrolled: 1-line block ×4, first 2 shown]
	v_mov_b32_e32 v25, v28
	v_lshlrev_b64_e32 v[17:18], 3, v[22:23]
	v_dual_mov_b32 v21, v39 :: v_dual_add_nc_u32 v28, 0x348, v73
	v_mov_b32_e32 v2, v27
	s_delay_alu instid0(VALU_DEP_4) | instskip(NEXT) | instid1(VALU_DEP_4)
	v_lshlrev_b64_e32 v[19:20], 3, v[24:25]
	v_add_co_u32 v17, s0, v3, v17
	s_wait_alu 0xf1ff
	v_add_co_ci_u32_e64 v18, s0, v16, v18, s0
	v_mad_co_u64_u32 v[22:23], null, s9, v31, v[2:3]
	s_delay_alu instid0(VALU_DEP_4) | instskip(SKIP_2) | instid1(VALU_DEP_3)
	v_add_co_u32 v19, s0, v3, v19
	s_wait_alu 0xf1ff
	v_add_co_ci_u32_e64 v20, s0, v16, v20, s0
	v_mad_co_u64_u32 v[23:24], null, s9, v79, v[21:22]
	v_mad_co_u64_u32 v[24:25], null, s8, v28, 0
	v_mov_b32_e32 v27, v22
	s_delay_alu instid0(VALU_DEP_3) | instskip(NEXT) | instid1(VALU_DEP_2)
	v_mov_b32_e32 v39, v23
	v_lshlrev_b64_e32 v[21:22], 3, v[26:27]
	s_delay_alu instid0(VALU_DEP_4) | instskip(NEXT) | instid1(VALU_DEP_3)
	v_dual_mov_b32 v2, v25 :: v_dual_add_nc_u32 v23, 0x555, v73
	v_lshlrev_b64_e32 v[25:26], 3, v[38:39]
	s_delay_alu instid0(VALU_DEP_2) | instskip(NEXT) | instid1(VALU_DEP_3)
	v_mad_co_u64_u32 v[27:28], null, s9, v28, v[2:3]
	v_mad_co_u64_u32 v[28:29], null, s8, v23, 0
	v_add_co_u32 v21, s0, v3, v21
	s_wait_alu 0xf1ff
	v_add_co_ci_u32_e64 v22, s0, v16, v22, s0
	v_add_co_u32 v30, s0, v3, v25
	s_wait_alu 0xf1ff
	v_add_co_ci_u32_e64 v31, s0, v16, v26, s0
	v_mov_b32_e32 v25, v27
	v_mad_co_u64_u32 v[26:27], null, s8, v77, 0
	v_mov_b32_e32 v2, v29
	s_clause 0x3
	global_load_b64 v[40:41], v[17:18], off
	global_load_b64 v[50:51], v[19:20], off
	;; [unrolled: 1-line block ×4, first 2 shown]
	v_add_nc_u32_e32 v31, 0x594, v73
	v_lshlrev_b64_e32 v[17:18], 3, v[24:25]
	v_mad_co_u64_u32 v[52:53], null, s9, v23, v[2:3]
	v_mov_b32_e32 v2, v27
	s_delay_alu instid0(VALU_DEP_4) | instskip(NEXT) | instid1(VALU_DEP_4)
	v_mad_co_u64_u32 v[24:25], null, s8, v31, 0
	v_add_co_u32 v17, s0, v3, v17
	s_delay_alu instid0(VALU_DEP_3) | instskip(SKIP_3) | instid1(VALU_DEP_3)
	v_mad_co_u64_u32 v[21:22], null, s9, v77, v[2:3]
	v_dual_mov_b32 v29, v52 :: v_dual_add_nc_u32 v30, 0x387, v73
	s_wait_alu 0xf1ff
	v_add_co_ci_u32_e64 v18, s0, v16, v18, s0
	v_mov_b32_e32 v27, v21
	s_delay_alu instid0(VALU_DEP_3) | instskip(SKIP_2) | instid1(VALU_DEP_3)
	v_mad_co_u64_u32 v[19:20], null, s8, v30, 0
	v_lshlrev_b64_e32 v[22:23], 3, v[28:29]
	v_mad_co_u64_u32 v[28:29], null, s8, v75, 0
	v_mov_b32_e32 v2, v20
	s_delay_alu instid0(VALU_DEP_1)
	v_mad_co_u64_u32 v[20:21], null, s9, v30, v[2:3]
	v_mov_b32_e32 v2, v25
	v_add_co_u32 v21, s0, v3, v22
	s_wait_alu 0xf1ff
	v_add_co_ci_u32_e64 v22, s0, v16, v23, s0
	v_add_nc_u32_e32 v23, 0x3c6, v73
	v_mad_co_u64_u32 v[30:31], null, s9, v31, v[2:3]
	v_add_nc_u32_e32 v31, 0x5d3, v73
	v_lshlrev_b64_e32 v[25:26], 3, v[26:27]
	v_mov_b32_e32 v2, v29
	v_mad_co_u64_u32 v[52:53], null, s8, v23, 0
	v_lshlrev_b64_e32 v[19:20], 3, v[19:20]
	s_delay_alu instid0(VALU_DEP_4)
	v_add_co_u32 v57, s0, v3, v25
	v_mov_b32_e32 v25, v30
	v_mad_co_u64_u32 v[54:55], null, s9, v75, v[2:3]
	v_mad_co_u64_u32 v[55:56], null, s8, v31, 0
	v_mov_b32_e32 v2, v53
	s_wait_alu 0xf1ff
	v_add_co_ci_u32_e64 v58, s0, v16, v26, s0
	v_add_co_u32 v19, s0, v3, v19
	v_mov_b32_e32 v29, v54
	v_mad_co_u64_u32 v[26:27], null, s9, v23, v[2:3]
	v_mov_b32_e32 v2, v56
	v_lshlrev_b64_e32 v[23:24], 3, v[24:25]
	s_delay_alu instid0(VALU_DEP_4)
	v_lshlrev_b64_e32 v[27:28], 3, v[28:29]
	s_wait_alu 0xf1ff
	v_add_co_ci_u32_e64 v20, s0, v16, v20, s0
	v_mov_b32_e32 v53, v26
	v_mad_co_u64_u32 v[30:31], null, s9, v31, v[2:3]
	v_add_co_u32 v23, s0, v3, v23
	s_delay_alu instid0(VALU_DEP_3)
	v_lshlrev_b64_e32 v[25:26], 3, v[52:53]
	s_wait_alu 0xf1ff
	v_add_co_ci_u32_e64 v24, s0, v16, v24, s0
	v_add_co_u32 v27, s0, v3, v27
	v_mov_b32_e32 v56, v30
	s_wait_alu 0xf1ff
	v_add_co_ci_u32_e64 v28, s0, v16, v28, s0
	v_add_co_u32 v25, s0, v3, v25
	s_delay_alu instid0(VALU_DEP_3) | instskip(SKIP_2) | instid1(VALU_DEP_2)
	v_lshlrev_b64_e32 v[29:30], 3, v[55:56]
	s_wait_alu 0xf1ff
	v_add_co_ci_u32_e64 v26, s0, v16, v26, s0
                                        ; implicit-def: $vgpr2
	v_add_co_u32 v29, s0, v3, v29
	s_wait_alu 0xf1ff
	s_delay_alu instid0(VALU_DEP_3)
	v_add_co_ci_u32_e64 v30, s0, v16, v30, s0
	s_clause 0x7
	global_load_b64 v[60:61], v[17:18], off
	global_load_b64 v[66:67], v[21:22], off
	;; [unrolled: 1-line block ×8, first 2 shown]
	v_cmpx_gt_u32_e32 21, v73
	s_cbranch_execz .LBB0_14
; %bb.13:
	v_add_nc_u32_e32 v23, 0x1f8, v73
	v_add_nc_u32_e32 v24, 0x405, v73
	s_delay_alu instid0(VALU_DEP_2) | instskip(NEXT) | instid1(VALU_DEP_2)
	v_mad_co_u64_u32 v[17:18], null, s8, v23, 0
	v_mad_co_u64_u32 v[19:20], null, s8, v24, 0
	s_delay_alu instid0(VALU_DEP_2) | instskip(NEXT) | instid1(VALU_DEP_2)
	v_dual_mov_b32 v2, v18 :: v_dual_add_nc_u32 v25, 0x612, v73
	v_mov_b32_e32 v18, v20
	s_delay_alu instid0(VALU_DEP_2) | instskip(NEXT) | instid1(VALU_DEP_1)
	v_mad_co_u64_u32 v[21:22], null, s8, v25, 0
	v_mov_b32_e32 v20, v22
	s_delay_alu instid0(VALU_DEP_4) | instskip(NEXT) | instid1(VALU_DEP_4)
	v_mad_co_u64_u32 v[22:23], null, s9, v23, v[2:3]
	v_mad_co_u64_u32 v[23:24], null, s9, v24, v[18:19]
	s_delay_alu instid0(VALU_DEP_3) | instskip(NEXT) | instid1(VALU_DEP_3)
	v_mad_co_u64_u32 v[24:25], null, s9, v25, v[20:21]
	v_mov_b32_e32 v18, v22
	s_delay_alu instid0(VALU_DEP_3) | instskip(NEXT) | instid1(VALU_DEP_3)
	v_mov_b32_e32 v20, v23
	v_mov_b32_e32 v22, v24
	s_delay_alu instid0(VALU_DEP_3) | instskip(NEXT) | instid1(VALU_DEP_3)
	v_lshlrev_b64_e32 v[17:18], 3, v[17:18]
	v_lshlrev_b64_e32 v[19:20], 3, v[19:20]
	s_delay_alu instid0(VALU_DEP_3) | instskip(NEXT) | instid1(VALU_DEP_3)
	v_lshlrev_b64_e32 v[21:22], 3, v[21:22]
	v_add_co_u32 v17, s0, v3, v17
	s_wait_alu 0xf1ff
	s_delay_alu instid0(VALU_DEP_4) | instskip(NEXT) | instid1(VALU_DEP_4)
	v_add_co_ci_u32_e64 v18, s0, v16, v18, s0
	v_add_co_u32 v19, s0, v3, v19
	s_wait_alu 0xf1ff
	v_add_co_ci_u32_e64 v20, s0, v16, v20, s0
	v_add_co_u32 v21, s0, v3, v21
	s_wait_alu 0xf1ff
	v_add_co_ci_u32_e64 v22, s0, v16, v22, s0
	s_clause 0x2
	global_load_b64 v[2:3], v[17:18], off
	global_load_b64 v[70:71], v[19:20], off
	;; [unrolled: 1-line block ×3, first 2 shown]
.LBB0_14:
	s_wait_alu 0xfffe
	s_or_b32 exec_lo, exec_lo, s2
	v_dual_mov_b32 v85, v75 :: v_dual_mov_b32 v86, v77
	v_dual_mov_b32 v87, v79 :: v_dual_mov_b32 v82, v74
	;; [unrolled: 1-line block ×3, first 2 shown]
	v_mov_b32_e32 v81, v76
.LBB0_15:
	s_or_b32 exec_lo, exec_lo, s1
	s_wait_loadcnt 0x15
	v_dual_add_f32 v17, v4, v12 :: v_dual_sub_f32 v18, v13, v11
	v_add_f32_e32 v16, v12, v10
	s_wait_loadcnt 0x12
	v_add_f32_e32 v19, v36, v34
	s_wait_loadcnt 0xf
	v_dual_add_f32 v20, v32, v44 :: v_dual_add_f32 v17, v17, v10
	v_add_f32_e32 v21, v8, v32
	v_fmac_f32_e32 v4, -0.5, v16
	v_add_f32_e32 v16, v6, v34
	v_fmac_f32_e32 v6, -0.5, v19
	s_wait_loadcnt 0x4
	v_dual_add_f32 v24, v46, v14 :: v_dual_add_f32 v29, v64, v52
	v_fmamk_f32 v19, v18, 0x3f5db3d7, v4
	v_fmac_f32_e32 v4, 0xbf5db3d7, v18
	v_fmac_f32_e32 v8, -0.5, v20
	v_dual_sub_f32 v20, v33, v45 :: v_dual_add_f32 v25, v50, v40
	v_sub_f32_e32 v18, v35, v37
	v_add_f32_e32 v16, v36, v16
	s_delay_alu instid0(VALU_DEP_3)
	v_dual_add_f32 v28, v38, v60 :: v_dual_fmamk_f32 v23, v20, 0x3f5db3d7, v8
	s_wait_loadcnt 0x1
	v_add_f32_e32 v84, v54, v58
	v_fmamk_f32 v22, v18, 0x3f5db3d7, v6
	v_fmac_f32_e32 v6, 0xbf5db3d7, v18
	v_dual_add_f32 v18, v21, v44 :: v_dual_add_f32 v21, v46, v42
	v_mad_i32_i24 v97, v80, 12, 0
	v_add_f32_e32 v24, v24, v42
	v_mad_i32_i24 v95, v82, 12, 0
	v_mad_i32_i24 v96, v83, 12, 0
	v_dual_fmac_f32 v14, -0.5, v21 :: v_dual_sub_f32 v21, v47, v43
	v_mad_i32_i24 v98, v86, 12, 0
	v_mad_i32_i24 v99, v85, 12, 0
	v_cmp_gt_u32_e64 s0, 21, v73
	s_wait_loadcnt 0x0
	v_dual_add_f32 v89, v84, v56 :: v_dual_fmamk_f32 v26, v21, 0x3f5db3d7, v14
	v_dual_fmac_f32 v14, 0xbf5db3d7, v21 :: v_dual_add_f32 v21, v25, v48
	v_add_f32_e32 v25, v66, v60
	v_add_f32_e32 v84, v70, v2
	s_delay_alu instid0(VALU_DEP_2) | instskip(NEXT) | instid1(VALU_DEP_2)
	v_dual_fmac_f32 v38, -0.5, v25 :: v_dual_sub_f32 v25, v61, v67
	v_add_f32_e32 v84, v68, v84
	s_delay_alu instid0(VALU_DEP_2)
	v_fmamk_f32 v30, v25, 0x3f5db3d7, v38
	v_fmac_f32_e32 v38, 0xbf5db3d7, v25
	v_add_f32_e32 v25, v62, v29
	v_add_f32_e32 v29, v58, v56
	v_fmac_f32_e32 v8, 0xbf5db3d7, v20
	v_add_f32_e32 v20, v50, v48
	s_delay_alu instid0(VALU_DEP_3) | instskip(NEXT) | instid1(VALU_DEP_2)
	v_fmac_f32_e32 v54, -0.5, v29
	v_dual_sub_f32 v29, v59, v57 :: v_dual_fmac_f32 v40, -0.5, v20
	v_sub_f32_e32 v20, v51, v49
	s_delay_alu instid0(VALU_DEP_2) | instskip(SKIP_1) | instid1(VALU_DEP_3)
	v_fmamk_f32 v90, v29, 0x3f5db3d7, v54
	v_fmac_f32_e32 v54, 0xbf5db3d7, v29
	v_fmamk_f32 v27, v20, 0x3f5db3d7, v40
	v_fmac_f32_e32 v40, 0xbf5db3d7, v20
	v_add_f32_e32 v20, v62, v64
	v_mad_u32_u24 v29, v73, 12, 0
	ds_store_2addr_b32 v29, v17, v19 offset1:1
	ds_store_b32 v29, v4 offset:8
	v_fmac_f32_e32 v52, -0.5, v20
	v_sub_f32_e32 v20, v65, v63
	v_mad_i32_i24 v4, v81, 12, 0
	ds_store_2addr_b32 v97, v16, v22 offset1:1
	ds_store_b32 v97, v6 offset:8
	ds_store_2addr_b32 v4, v18, v23 offset1:1
	ds_store_b32 v4, v8 offset:8
	v_fmamk_f32 v31, v20, 0x3f5db3d7, v52
	v_fmac_f32_e32 v52, 0xbf5db3d7, v20
	v_add_f32_e32 v20, v70, v68
	v_add_f32_e32 v28, v28, v66
	v_mad_i32_i24 v8, v87, 12, 0
	ds_store_2addr_b32 v95, v24, v26 offset1:1
	ds_store_b32 v95, v14 offset:8
	ds_store_2addr_b32 v96, v21, v27 offset1:1
	ds_store_b32 v96, v40 offset:8
	;; [unrolled: 2-line block ×3, first 2 shown]
	v_fmac_f32_e32 v2, -0.5, v20
	v_sub_f32_e32 v20, v71, v69
	ds_store_2addr_b32 v98, v25, v31 offset1:1
	ds_store_b32 v98, v52 offset:8
	ds_store_2addr_b32 v99, v89, v90 offset1:1
	ds_store_b32 v99, v54 offset:8
	v_fmamk_f32 v88, v20, 0x3f5db3d7, v2
	v_fmac_f32_e32 v2, 0xbf5db3d7, v20
	v_mul_u32_u24_e32 v20, 12, v73
	s_delay_alu instid0(VALU_DEP_1)
	v_add_nc_u32_e32 v6, 0, v20
	s_and_saveexec_b32 s1, s0
	s_cbranch_execz .LBB0_17
; %bb.16:
	s_delay_alu instid0(VALU_DEP_1)
	v_add_nc_u32_e32 v14, 0x17a0, v6
	ds_store_2addr_b32 v14, v84, v88 offset1:1
	ds_store_b32 v6, v2 offset:6056
.LBB0_17:
	s_wait_alu 0xfffe
	s_or_b32 exec_lo, exec_lo, s1
	v_lshl_add_u32 v52, v73, 2, 0
	v_lshlrev_b32_e32 v14, 3, v80
	v_lshlrev_b32_e32 v54, 3, v81
	;; [unrolled: 1-line block ×4, first 2 shown]
	v_add_nc_u32_e32 v20, 0x800, v52
	v_add_nc_u32_e32 v22, 0x1000, v52
	;; [unrolled: 1-line block ×3, first 2 shown]
	v_lshlrev_b32_e32 v105, 3, v87
	v_lshlrev_b32_e32 v104, 3, v86
	;; [unrolled: 1-line block ×3, first 2 shown]
	v_sub_nc_u32_e32 v38, v97, v14
	v_add_nc_u32_e32 v29, 0x1400, v52
	v_sub_nc_u32_e32 v40, v4, v54
	v_sub_nc_u32_e32 v89, v95, v100
	;; [unrolled: 1-line block ×3, first 2 shown]
	global_wb scope:SCOPE_SE
	s_wait_dscnt 0x0
	s_barrier_signal -1
	s_barrier_wait -1
	global_inv scope:SCOPE_SE
	ds_load_2addr_b32 v[18:19], v20 offset0:13 offset1:76
	ds_load_2addr_b32 v[16:17], v22 offset0:26 offset1:89
	;; [unrolled: 1-line block ×6, first 2 shown]
	v_sub_nc_u32_e32 v102, v8, v105
	v_sub_nc_u32_e32 v103, v98, v104
	ds_load_2addr_b32 v[30:31], v28 offset0:135 offset1:198
	ds_load_2addr_b32 v[28:29], v29 offset0:148 offset1:211
	v_sub_nc_u32_e32 v107, v99, v106
	ds_load_b32 v94, v52
	ds_load_b32 v93, v38
	;; [unrolled: 1-line block ×8, first 2 shown]
	s_and_saveexec_b32 s1, s0
	s_cbranch_execz .LBB0_19
; %bb.18:
	ds_load_b32 v84, v52 offset:2016
	ds_load_b32 v88, v52 offset:4116
	;; [unrolled: 1-line block ×3, first 2 shown]
.LBB0_19:
	s_wait_alu 0xfffe
	s_or_b32 exec_lo, exec_lo, s1
	v_dual_add_f32 v107, v13, v11 :: v_dual_sub_f32 v10, v12, v10
	v_add_f32_e32 v13, v5, v13
	v_sub_nc_u32_e32 v12, 0, v104
	v_sub_nc_u32_e32 v103, 0, v14
	s_delay_alu instid0(VALU_DEP_4)
	v_fmac_f32_e32 v5, -0.5, v107
	v_sub_nc_u32_e32 v54, 0, v54
	v_sub_nc_u32_e32 v14, 0, v100
	;; [unrolled: 1-line block ×4, first 2 shown]
	v_dual_fmamk_f32 v104, v10, 0xbf5db3d7, v5 :: v_dual_add_f32 v11, v13, v11
	v_add_f32_e32 v13, v37, v35
	v_add_f32_e32 v35, v7, v35
	v_dual_fmac_f32 v5, 0x3f5db3d7, v10 :: v_dual_add_f32 v10, v33, v45
	v_add_f32_e32 v33, v9, v33
	s_delay_alu instid0(VALU_DEP_4) | instskip(SKIP_1) | instid1(VALU_DEP_4)
	v_fmac_f32_e32 v7, -0.5, v13
	v_dual_sub_f32 v13, v34, v36 :: v_dual_add_f32 v36, v47, v15
	v_dual_fmac_f32 v9, -0.5, v10 :: v_dual_sub_f32 v10, v32, v44
	v_add_f32_e32 v44, v39, v61
	s_delay_alu instid0(VALU_DEP_3)
	v_fmamk_f32 v32, v13, 0xbf5db3d7, v7
	v_add_f32_e32 v34, v37, v35
	v_add_f32_e32 v37, v36, v43
	v_fmamk_f32 v35, v10, 0xbf5db3d7, v9
	v_dual_fmac_f32 v9, 0x3f5db3d7, v10 :: v_dual_add_f32 v10, v51, v49
	v_add_f32_e32 v36, v51, v41
	v_fmac_f32_e32 v7, 0x3f5db3d7, v13
	v_sub_nc_u32_e32 v101, 0, v106
	s_delay_alu instid0(VALU_DEP_4) | instskip(SKIP_3) | instid1(VALU_DEP_3)
	v_dual_add_f32 v44, v44, v67 :: v_dual_fmac_f32 v41, -0.5, v10
	v_dual_sub_f32 v10, v50, v48 :: v_dual_add_f32 v13, v33, v45
	v_add_f32_e32 v33, v47, v43
	v_dual_add_f32 v45, v65, v53 :: v_dual_add_f32 v48, v55, v59
	v_fmamk_f32 v43, v10, 0xbf5db3d7, v41
	v_dual_fmac_f32 v41, 0x3f5db3d7, v10 :: v_dual_add_f32 v10, v63, v65
	v_add_nc_u32_e32 v50, 0x1f8, v73
	s_delay_alu instid0(VALU_DEP_4)
	v_add_f32_e32 v48, v48, v57
	v_add_f32_e32 v45, v63, v45
	global_wb scope:SCOPE_SE
	s_wait_dscnt 0x0
	v_fmac_f32_e32 v53, -0.5, v10
	v_dual_sub_f32 v10, v64, v62 :: v_dual_fmac_f32 v15, -0.5, v33
	v_sub_f32_e32 v33, v46, v42
	s_barrier_signal -1
	s_barrier_wait -1
	s_delay_alu instid0(VALU_DEP_2)
	v_fmamk_f32 v47, v10, 0xbf5db3d7, v53
	v_fmac_f32_e32 v53, 0x3f5db3d7, v10
	v_fmamk_f32 v42, v33, 0xbf5db3d7, v15
	v_fmac_f32_e32 v15, 0x3f5db3d7, v33
	v_add_f32_e32 v33, v36, v49
	v_add_f32_e32 v36, v67, v61
	;; [unrolled: 1-line block ×4, first 2 shown]
	global_inv scope:SCOPE_SE
	v_dual_fmac_f32 v39, -0.5, v36 :: v_dual_sub_f32 v36, v60, v66
	v_dual_fmac_f32 v3, -0.5, v10 :: v_dual_sub_f32 v10, v70, v68
	s_delay_alu instid0(VALU_DEP_2) | instskip(SKIP_1) | instid1(VALU_DEP_1)
	v_fmamk_f32 v46, v36, 0xbf5db3d7, v39
	v_dual_fmac_f32 v39, 0x3f5db3d7, v36 :: v_dual_add_f32 v36, v59, v57
	v_fmac_f32_e32 v55, -0.5, v36
	v_sub_f32_e32 v36, v58, v56
	s_delay_alu instid0(VALU_DEP_1)
	v_fmamk_f32 v51, v36, 0xbf5db3d7, v55
	v_dual_fmac_f32 v55, 0x3f5db3d7, v36 :: v_dual_add_f32 v36, v69, v49
	v_fmamk_f32 v49, v10, 0xbf5db3d7, v3
	v_fmac_f32_e32 v3, 0x3f5db3d7, v10
	ds_store_2addr_b32 v6, v11, v104 offset1:1
	ds_store_b32 v6, v5 offset:8
	ds_store_2addr_b32 v97, v34, v32 offset1:1
	ds_store_b32 v97, v7 offset:8
	ds_store_2addr_b32 v4, v13, v35 offset1:1
	ds_store_b32 v4, v9 offset:8
	ds_store_2addr_b32 v95, v37, v42 offset1:1
	ds_store_b32 v95, v15 offset:8
	ds_store_2addr_b32 v96, v33, v43 offset1:1
	ds_store_b32 v96, v41 offset:8
	ds_store_2addr_b32 v8, v44, v46 offset1:1
	ds_store_b32 v8, v39 offset:8
	ds_store_2addr_b32 v98, v45, v47 offset1:1
	ds_store_b32 v98, v53 offset:8
	ds_store_2addr_b32 v99, v48, v51 offset1:1
	ds_store_b32 v99, v55 offset:8
	s_and_saveexec_b32 s1, s0
	s_cbranch_execz .LBB0_21
; %bb.20:
	v_mad_u32_u24 v5, v50, 12, 0
	ds_store_2addr_b32 v5, v36, v49 offset1:1
	ds_store_b32 v5, v3 offset:8
.LBB0_21:
	s_wait_alu 0xfffe
	s_or_b32 exec_lo, exec_lo, s1
	v_add_nc_u32_e32 v5, 0x800, v52
	v_add_nc_u32_e32 v9, 0x1000, v52
	;; [unrolled: 1-line block ×8, first 2 shown]
	global_wb scope:SCOPE_SE
	s_wait_dscnt 0x0
	s_barrier_signal -1
	s_barrier_wait -1
	global_inv scope:SCOPE_SE
	ds_load_2addr_b32 v[10:11], v5 offset0:13 offset1:76
	ds_load_2addr_b32 v[6:7], v9 offset0:26 offset1:89
	;; [unrolled: 1-line block ×6, first 2 shown]
	v_add_nc_u32_e32 v56, v8, v100
	v_add_nc_u32_e32 v39, v98, v12
	ds_load_2addr_b32 v[12:13], v13 offset0:135 offset1:198
	ds_load_2addr_b32 v[8:9], v37 offset0:148 offset1:211
	v_add_nc_u32_e32 v37, v99, v101
	ds_load_b32 v48, v52
	ds_load_b32 v47, v51
	;; [unrolled: 1-line block ×8, first 2 shown]
	s_and_saveexec_b32 s1, s0
	s_cbranch_execz .LBB0_23
; %bb.22:
	ds_load_b32 v36, v52 offset:2016
	ds_load_b32 v49, v52 offset:4116
	;; [unrolled: 1-line block ×3, first 2 shown]
.LBB0_23:
	s_wait_alu 0xfffe
	s_or_b32 exec_lo, exec_lo, s1
	v_and_b32_e32 v39, 0xff, v73
	v_and_b32_e32 v59, 0xff, v80
	s_delay_alu instid0(VALU_DEP_2) | instskip(NEXT) | instid1(VALU_DEP_2)
	v_mul_lo_u16 v60, 0xab, v39
	v_mul_lo_u16 v64, 0xab, v59
	s_delay_alu instid0(VALU_DEP_2) | instskip(NEXT) | instid1(VALU_DEP_2)
	v_lshrrev_b16 v60, 9, v60
	v_lshrrev_b16 v64, 9, v64
	s_delay_alu instid0(VALU_DEP_2) | instskip(NEXT) | instid1(VALU_DEP_2)
	v_mul_lo_u16 v68, v60, 3
	v_mul_lo_u16 v70, v64, 3
	s_delay_alu instid0(VALU_DEP_2) | instskip(NEXT) | instid1(VALU_DEP_2)
	v_sub_nc_u16 v68, v73, v68
	v_sub_nc_u16 v70, v80, v70
	s_delay_alu instid0(VALU_DEP_2) | instskip(NEXT) | instid1(VALU_DEP_2)
	v_and_b32_e32 v68, 0xff, v68
	v_and_b32_e32 v70, 0xff, v70
	s_delay_alu instid0(VALU_DEP_2) | instskip(NEXT) | instid1(VALU_DEP_2)
	v_lshlrev_b32_e32 v96, 4, v68
	v_lshlrev_b32_e32 v97, 4, v70
	s_clause 0x1
	global_load_b128 v[111:114], v96, s[4:5]
	global_load_b128 v[115:118], v97, s[4:5]
	v_and_b32_e32 v58, 0xff, v81
	v_and_b32_e32 v57, 0xff, v82
	;; [unrolled: 1-line block ×3, first 2 shown]
	s_wait_loadcnt 0x1
	v_dual_mul_f32 v107, v18, v112 :: v_dual_and_b32 v62, 0xffff, v86
	s_wait_loadcnt 0x0
	v_mul_f32_e32 v105, v19, v116
	v_mul_lo_u16 v66, 0xab, v58
	s_wait_dscnt 0xf
	v_mul_f32_e32 v108, v10, v112
	v_mul_f32_e32 v112, v11, v116
	v_mul_lo_u16 v67, 0xab, v57
	v_mul_f32_e32 v106, v17, v118
	v_lshrrev_b16 v66, 9, v66
	v_mul_u32_u24_e32 v69, 0xaaab, v37
	v_mul_u32_u24_e32 v62, 0xaaab, v62
	v_lshrrev_b16 v67, 9, v67
	s_wait_dscnt 0xe
	v_mul_f32_e32 v109, v6, v114
	v_mul_lo_u16 v71, v66, 3
	v_lshrrev_b32_e32 v69, 17, v69
	v_lshrrev_b32_e32 v62, 17, v62
	v_mul_lo_u16 v95, v67, 3
	v_and_b32_e32 v66, 0xffff, v66
	v_sub_nc_u16 v71, v81, v71
	v_mul_lo_u16 v98, v69, 3
	v_mul_lo_u16 v99, v62, 3
	v_sub_nc_u16 v95, v82, v95
	v_fmac_f32_e32 v107, v10, v111
	v_and_b32_e32 v71, 0xff, v71
	v_sub_nc_u16 v98, v83, v98
	v_sub_nc_u16 v86, v86, v99
	v_and_b32_e32 v95, 0xff, v95
	v_mul_u32_u24_e32 v66, 36, v66
	v_lshlrev_b32_e32 v97, 4, v71
	v_and_b32_e32 v98, 0xffff, v98
	v_and_b32_e32 v86, 0xffff, v86
	v_mul_u32_u24_e32 v62, 36, v62
	v_fma_f32 v110, v18, v111, -v108
	global_load_b128 v[119:122], v97, s[4:5]
	v_and_b32_e32 v61, 0xffff, v87
	v_fma_f32 v111, v16, v113, -v109
	v_fma_f32 v108, v19, v115, -v112
	v_fmac_f32_e32 v105, v11, v115
	s_delay_alu instid0(VALU_DEP_4) | instskip(NEXT) | instid1(VALU_DEP_1)
	v_mul_u32_u24_e32 v61, 0xaaab, v61
	v_lshrrev_b32_e32 v61, 17, v61
	s_delay_alu instid0(VALU_DEP_1) | instskip(SKIP_1) | instid1(VALU_DEP_2)
	v_mul_lo_u16 v96, v61, 3
	v_mul_u32_u24_e32 v61, 36, v61
	v_sub_nc_u16 v87, v87, v96
	v_lshlrev_b32_e32 v96, 4, v95
	global_load_b128 v[123:126], v96, s[4:5]
	v_lshlrev_b32_e32 v96, 4, v98
	v_and_b32_e32 v63, 0xffff, v85
	v_and_b32_e32 v65, 0xffff, v50
	global_load_b128 v[127:130], v96, s[4:5]
	v_and_b32_e32 v87, 0xffff, v87
	s_delay_alu instid0(VALU_DEP_1)
	v_lshlrev_b32_e32 v99, 4, v87
	global_load_b128 v[131:134], v99, s[4:5]
	v_and_b32_e32 v60, 0xffff, v60
	s_wait_loadcnt 0x3
	v_mul_f32_e32 v104, v20, v120
	v_mul_u32_u24_e32 v63, 0xaaab, v63
	s_wait_dscnt 0xd
	v_mul_f32_e32 v116, v4, v120
	s_delay_alu instid0(VALU_DEP_2) | instskip(NEXT) | instid1(VALU_DEP_2)
	v_lshrrev_b32_e32 v63, 17, v63
	v_fma_f32 v20, v20, v119, -v116
	s_delay_alu instid0(VALU_DEP_2) | instskip(SKIP_1) | instid1(VALU_DEP_2)
	v_mul_lo_u16 v100, v63, 3
	v_mul_u32_u24_e32 v63, 36, v63
	v_sub_nc_u16 v85, v85, v100
	s_delay_alu instid0(VALU_DEP_1) | instskip(SKIP_1) | instid1(VALU_DEP_1)
	v_and_b32_e32 v85, 0xffff, v85
	s_wait_loadcnt 0x2
	v_dual_mul_f32 v120, v5, v124 :: v_dual_lshlrev_b32 v101, 2, v85
	v_mul_u32_u24_e32 v65, 0xaaab, v65
	v_lshlrev_b32_e32 v99, 4, v85
	v_dual_mul_f32 v103, v21, v124 :: v_dual_lshlrev_b32 v70, 2, v70
	v_lshlrev_b32_e32 v100, 2, v86
	s_delay_alu instid0(VALU_DEP_4) | instskip(NEXT) | instid1(VALU_DEP_3)
	v_lshrrev_b32_e32 v65, 17, v65
	v_dual_mul_f32 v102, v23, v126 :: v_dual_fmac_f32 v103, v5, v123
	s_wait_loadcnt_dscnt 0x10b
	v_mul_f32_e32 v124, v32, v128
	v_fma_f32 v19, v21, v123, -v120
	v_mul_lo_u16 v97, v65, 3
	s_delay_alu instid0(VALU_DEP_1) | instskip(SKIP_1) | instid1(VALU_DEP_2)
	v_sub_nc_u16 v96, v50, v97
	v_lshlrev_b32_e32 v97, 4, v86
	v_and_b32_e32 v96, 0xffff, v96
	global_load_b128 v[135:138], v97, s[4:5]
	v_lshlrev_b32_e32 v71, 2, v71
	v_and_b32_e32 v67, 0xffff, v67
	s_delay_alu instid0(VALU_DEP_2)
	v_add3_u32 v85, 0, v66, v71
	v_add3_u32 v66, 0, v63, v101
	v_mul_f32_e32 v63, v24, v130
	v_lshlrev_b32_e32 v97, 4, v96
	s_clause 0x1
	global_load_b128 v[139:142], v99, s[4:5]
	global_load_b128 v[143:146], v97, s[4:5]
	v_and_b32_e32 v97, 0xffff, v64
	v_lshlrev_b32_e32 v68, 2, v68
	v_lshlrev_b32_e32 v87, 2, v87
	v_mul_u32_u24_e32 v99, 36, v69
	v_mul_u32_u24_e32 v67, 36, v67
	;; [unrolled: 1-line block ×3, first 2 shown]
	v_mul_f32_e32 v101, v16, v114
	v_mul_f32_e32 v114, v7, v118
	;; [unrolled: 1-line block ×3, first 2 shown]
	v_mul_lo_u16 v64, v65, 9
	v_add3_u32 v86, 0, v97, v70
	s_wait_loadcnt 0x3
	v_mul_f32_e32 v97, v25, v134
	v_mul_u32_u24_e32 v60, 36, v60
	v_lshlrev_b32_e32 v65, 2, v96
	v_mul_f32_e32 v96, v27, v132
	v_fma_f32 v109, v17, v117, -v114
	v_fmac_f32_e32 v101, v6, v113
	v_add3_u32 v69, 0, v60, v68
	v_add3_u32 v68, 0, v61, v87
	s_wait_dscnt 0xa
	v_dual_fmac_f32 v104, v4, v119 :: v_dual_fmac_f32 v97, v15, v133
	v_fma_f32 v16, v26, v127, -v124
	v_dual_fmac_f32 v96, v33, v131 :: v_dual_sub_f32 v5, v107, v101
	global_wb scope:SCOPE_SE
	s_wait_loadcnt_dscnt 0x0
	s_barrier_signal -1
	s_barrier_wait -1
	global_inv scope:SCOPE_SE
	v_fmac_f32_e32 v63, v14, v129
	v_dual_mul_f32 v61, v31, v140 :: v_dual_lshlrev_b32 v98, 2, v98
	v_dual_mul_f32 v60, v29, v142 :: v_dual_mul_f32 v87, v88, v144
	s_delay_alu instid0(VALU_DEP_2) | instskip(NEXT) | instid1(VALU_DEP_3)
	v_dual_fmac_f32 v106, v7, v117 :: v_dual_fmac_f32 v61, v13, v139
	v_add3_u32 v70, 0, v99, v98
	v_mul_f32_e32 v99, v22, v122
	v_dual_mul_f32 v122, v35, v126 :: v_dual_lshlrev_b32 v95, 2, v95
	v_mul_f32_e32 v126, v14, v130
	v_mul_f32_e32 v130, v15, v134
	;; [unrolled: 1-line block ×4, first 2 shown]
	v_add3_u32 v71, 0, v67, v95
	v_add3_u32 v67, 0, v62, v100
	v_mul_f32_e32 v100, v26, v128
	v_mul_f32_e32 v128, v33, v132
	;; [unrolled: 1-line block ×8, first 2 shown]
	v_dual_mul_f32 v95, v2, v146 :: v_dual_fmac_f32 v98, v12, v135
	v_fmac_f32_e32 v62, v8, v137
	s_delay_alu instid0(VALU_DEP_4) | instskip(NEXT) | instid1(VALU_DEP_4)
	v_fma_f32 v7, v88, v143, -v140
	v_fma_f32 v8, v2, v145, -v142
	v_fma_f32 v22, v22, v121, -v118
	v_fma_f32 v21, v23, v125, -v122
	v_dual_fmac_f32 v102, v35, v125 :: v_dual_fmac_f32 v87, v49, v143
	v_dual_fmac_f32 v100, v32, v127 :: v_dual_fmac_f32 v95, v3, v145
	v_fma_f32 v18, v24, v129, -v126
	v_fma_f32 v14, v27, v131, -v128
	;; [unrolled: 1-line block ×7, first 2 shown]
	v_dual_fmac_f32 v60, v9, v141 :: v_dual_add_f32 v15, v92, v20
	v_dual_add_f32 v2, v94, v110 :: v_dual_add_f32 v25, v91, v19
	v_add_f32_e32 v3, v110, v111
	v_add_f32_e32 v9, v93, v108
	v_dual_sub_f32 v49, v98, v62 :: v_dual_add_f32 v114, v7, v8
	v_dual_add_f32 v12, v108, v109 :: v_dual_sub_f32 v13, v105, v106
	v_fmac_f32_e32 v99, v34, v121
	v_dual_add_f32 v23, v20, v22 :: v_dual_add_f32 v26, v19, v21
	v_dual_add_f32 v28, v90, v16 :: v_dual_add_f32 v29, v16, v18
	v_dual_sub_f32 v30, v100, v63 :: v_dual_add_f32 v31, v89, v14
	v_dual_add_f32 v32, v14, v17 :: v_dual_sub_f32 v113, v61, v60
	v_dual_add_f32 v34, v40, v10 :: v_dual_add_f32 v35, v10, v11
	v_dual_add_f32 v112, v4, v6 :: v_dual_sub_f32 v115, v87, v95
	v_add_f32_e32 v116, v2, v111
	v_dual_fmac_f32 v94, -0.5, v3 :: v_dual_fmac_f32 v93, -0.5, v12
	v_fma_f32 v2, -0.5, v114, v84
	v_dual_sub_f32 v24, v104, v99 :: v_dual_sub_f32 v27, v103, v102
	v_add_f32_e32 v3, v9, v109
	v_dual_add_f32 v9, v15, v22 :: v_dual_fmac_f32 v92, -0.5, v23
	v_dual_sub_f32 v33, v96, v97 :: v_dual_add_f32 v88, v38, v4
	v_dual_add_f32 v12, v25, v21 :: v_dual_fmac_f32 v91, -0.5, v26
	v_dual_add_f32 v15, v28, v18 :: v_dual_fmac_f32 v90, -0.5, v29
	v_dual_add_f32 v23, v31, v17 :: v_dual_fmac_f32 v40, -0.5, v35
	s_delay_alu instid0(VALU_DEP_4)
	v_dual_fmac_f32 v89, -0.5, v32 :: v_dual_add_f32 v26, v88, v6
	v_dual_add_f32 v25, v34, v11 :: v_dual_fmac_f32 v38, -0.5, v112
	v_fmamk_f32 v28, v5, 0x3f5db3d7, v94
	v_fmac_f32_e32 v94, 0xbf5db3d7, v5
	v_fmamk_f32 v5, v115, 0x3f5db3d7, v2
	v_fmac_f32_e32 v2, 0xbf5db3d7, v115
	;; [unrolled: 2-line block ×9, first 2 shown]
	ds_store_2addr_b32 v69, v116, v28 offset1:3
	ds_store_b32 v69, v94 offset:24
	ds_store_2addr_b32 v86, v3, v29 offset1:3
	ds_store_b32 v86, v93 offset:24
	;; [unrolled: 2-line block ×8, first 2 shown]
	s_and_saveexec_b32 s1, s0
	s_cbranch_execz .LBB0_25
; %bb.24:
	v_and_b32_e32 v3, 0xffff, v64
	v_add_f32_e32 v9, v84, v7
	s_delay_alu instid0(VALU_DEP_2) | instskip(NEXT) | instid1(VALU_DEP_2)
	v_lshlrev_b32_e32 v3, 2, v3
	v_add_f32_e32 v9, v9, v8
	s_delay_alu instid0(VALU_DEP_2)
	v_add3_u32 v3, 0, v65, v3
	ds_store_2addr_b32 v3, v9, v5 offset1:3
	ds_store_b32 v3, v2 offset:24
.LBB0_25:
	s_wait_alu 0xfffe
	s_or_b32 exec_lo, exec_lo, s1
	v_dual_add_f32 v3, v107, v101 :: v_dual_sub_f32 v12, v110, v111
	v_add_f32_e32 v9, v48, v107
	v_add_f32_e32 v13, v105, v106
	s_delay_alu instid0(VALU_DEP_3)
	v_dual_sub_f32 v15, v108, v109 :: v_dual_fmac_f32 v48, -0.5, v3
	v_add_f32_e32 v3, v47, v105
	v_add_nc_u32_e32 v33, 0xe00, v52
	v_add_nc_u32_e32 v49, 0xa00, v52
	v_add_nc_u32_e32 v29, 0x600, v52
	v_fmamk_f32 v34, v12, 0xbf5db3d7, v48
	v_fmac_f32_e32 v48, 0x3f5db3d7, v12
	v_dual_add_f32 v32, v9, v101 :: v_dual_add_f32 v35, v3, v106
	v_dual_add_f32 v9, v46, v104 :: v_dual_add_f32 v12, v103, v102
	v_add_f32_e32 v3, v104, v99
	v_fmac_f32_e32 v47, -0.5, v13
	global_wb scope:SCOPE_SE
	s_wait_dscnt 0x0
	v_add_f32_e32 v88, v9, v99
	v_add_f32_e32 v9, v45, v103
	v_dual_fmac_f32 v46, -0.5, v3 :: v_dual_sub_f32 v3, v20, v22
	v_dual_fmac_f32 v45, -0.5, v12 :: v_dual_sub_f32 v12, v19, v21
	v_fmamk_f32 v84, v15, 0xbf5db3d7, v47
	s_barrier_signal -1
	s_delay_alu instid0(VALU_DEP_3)
	v_fmamk_f32 v89, v3, 0xbf5db3d7, v46
	v_fmac_f32_e32 v46, 0x3f5db3d7, v3
	v_add_f32_e32 v3, v100, v63
	v_fmamk_f32 v91, v12, 0xbf5db3d7, v45
	v_dual_fmac_f32 v45, 0x3f5db3d7, v12 :: v_dual_add_f32 v12, v96, v97
	v_dual_fmac_f32 v47, 0x3f5db3d7, v15 :: v_dual_add_f32 v90, v9, v102
	v_add_f32_e32 v9, v44, v100
	v_sub_f32_e32 v4, v4, v6
	v_add_nc_u32_e32 v40, 0x400, v52
	s_barrier_wait -1
	global_inv scope:SCOPE_SE
	v_dual_add_f32 v92, v9, v63 :: v_dual_add_f32 v9, v43, v96
	v_dual_fmac_f32 v43, -0.5, v12 :: v_dual_sub_f32 v12, v14, v17
	v_fmac_f32_e32 v44, -0.5, v3
	v_add_nc_u32_e32 v38, 0xc00, v52
	s_delay_alu instid0(VALU_DEP_3)
	v_fmamk_f32 v96, v12, 0xbf5db3d7, v43
	v_dual_add_f32 v94, v9, v97 :: v_dual_sub_f32 v9, v10, v11
	v_add_f32_e32 v13, v98, v62
	v_dual_sub_f32 v3, v16, v18 :: v_dual_add_f32 v10, v61, v60
	v_add_f32_e32 v11, v41, v61
	v_add_nc_u32_e32 v61, 0x1400, v52
	s_delay_alu instid0(VALU_DEP_3) | instskip(NEXT) | instid1(VALU_DEP_4)
	v_fmamk_f32 v93, v3, 0xbf5db3d7, v44
	v_dual_fmac_f32 v44, 0x3f5db3d7, v3 :: v_dual_fmac_f32 v41, -0.5, v10
	v_dual_add_f32 v3, v42, v98 :: v_dual_fmac_f32 v42, -0.5, v13
	v_add_nc_u32_e32 v13, 0x1200, v52
	s_delay_alu instid0(VALU_DEP_3) | instskip(NEXT) | instid1(VALU_DEP_3)
	v_dual_add_f32 v99, v11, v60 :: v_dual_fmamk_f32 v100, v4, 0xbf5db3d7, v41
	v_add_f32_e32 v97, v3, v62
	s_delay_alu instid0(VALU_DEP_4) | instskip(SKIP_2) | instid1(VALU_DEP_3)
	v_dual_add_f32 v3, v87, v95 :: v_dual_fmamk_f32 v98, v9, 0xbf5db3d7, v42
	v_add_nc_u32_e32 v62, 0x1000, v52
	v_dual_fmac_f32 v42, 0x3f5db3d7, v9 :: v_dual_fmac_f32 v41, 0x3f5db3d7, v4
	v_fma_f32 v6, -0.5, v3, v36
	v_sub_f32_e32 v3, v7, v8
	v_fmac_f32_e32 v43, 0x3f5db3d7, v12
	v_add_nc_u32_e32 v12, 0x800, v52
	ds_load_b32 v28, v52
	ds_load_2addr_b32 v[16:17], v12 offset0:118 offset1:181
	v_fmamk_f32 v9, v3, 0xbf5db3d7, v6
	v_fmac_f32_e32 v6, 0x3f5db3d7, v3
	ds_load_2addr_b32 v[3:4], v38 offset0:114 offset1:177
	ds_load_2addr_b32 v[26:27], v13 offset0:108 offset1:171
	;; [unrolled: 1-line block ×6, first 2 shown]
	ds_load_b32 v31, v53
	ds_load_b32 v30, v54
	ds_load_2addr_b32 v[20:21], v29 offset0:120 offset1:183
	ds_load_2addr_b32 v[14:15], v62 offset0:110 offset1:173
	ds_load_b32 v60, v56
	ds_load_b32 v11, v55
	;; [unrolled: 1-line block ×3, first 2 shown]
	ds_load_b32 v10, v52 offset:6048
	global_wb scope:SCOPE_SE
	s_wait_dscnt 0x0
	s_barrier_signal -1
	s_barrier_wait -1
	global_inv scope:SCOPE_SE
	ds_store_2addr_b32 v69, v32, v34 offset1:3
	ds_store_b32 v69, v48 offset:24
	ds_store_2addr_b32 v86, v35, v84 offset1:3
	ds_store_b32 v86, v47 offset:24
	;; [unrolled: 2-line block ×8, first 2 shown]
	s_and_saveexec_b32 s1, s0
	s_cbranch_execz .LBB0_27
; %bb.26:
	v_and_b32_e32 v32, 0xffff, v64
	v_add_f32_e32 v34, v36, v87
	s_delay_alu instid0(VALU_DEP_2) | instskip(NEXT) | instid1(VALU_DEP_2)
	v_lshlrev_b32_e32 v32, 2, v32
	v_add_f32_e32 v34, v34, v95
	s_delay_alu instid0(VALU_DEP_2)
	v_add3_u32 v32, 0, v65, v32
	ds_store_2addr_b32 v32, v34, v9 offset1:3
	ds_store_b32 v32, v6 offset:24
.LBB0_27:
	s_wait_alu 0xfffe
	s_or_b32 exec_lo, exec_lo, s1
	v_mul_lo_u16 v32, v39, 57
	global_wb scope:SCOPE_SE
	s_wait_dscnt 0x0
	s_barrier_signal -1
	s_barrier_wait -1
	global_inv scope:SCOPE_SE
	v_lshrrev_b16 v36, 9, v32
	v_mul_lo_u16 v32, v59, 57
	v_cmp_gt_u32_e64 s0, 36, v73
	s_delay_alu instid0(VALU_DEP_3) | instskip(NEXT) | instid1(VALU_DEP_3)
	v_mul_lo_u16 v34, v36, 9
	v_lshrrev_b16 v39, 9, v32
	v_mul_lo_u16 v32, v58, 57
	s_delay_alu instid0(VALU_DEP_3) | instskip(NEXT) | instid1(VALU_DEP_3)
	v_sub_nc_u16 v34, v73, v34
	v_mul_lo_u16 v35, v39, 9
	s_delay_alu instid0(VALU_DEP_3) | instskip(SKIP_1) | instid1(VALU_DEP_4)
	v_lshrrev_b16 v42, 9, v32
	v_mul_lo_u16 v32, v57, 57
	v_and_b32_e32 v41, 0xff, v34
	s_delay_alu instid0(VALU_DEP_4) | instskip(NEXT) | instid1(VALU_DEP_4)
	v_sub_nc_u16 v34, v80, v35
	v_mul_lo_u16 v43, v42, 9
	s_delay_alu instid0(VALU_DEP_4) | instskip(SKIP_2) | instid1(VALU_DEP_3)
	v_lshrrev_b16 v44, 9, v32
	v_mul_u32_u24_e32 v32, 0xe38f, v37
	v_lshlrev_b32_e32 v35, 5, v41
	v_mul_lo_u16 v37, v44, 9
	s_delay_alu instid0(VALU_DEP_3)
	v_lshrrev_b32_e32 v46, 19, v32
	s_clause 0x1
	global_load_b128 v[67:70], v35, s[4:5] offset:48
	global_load_b128 v[86:89], v35, s[4:5] offset:64
	v_and_b32_e32 v45, 0xff, v34
	v_sub_nc_u16 v34, v81, v43
	v_sub_nc_u16 v32, v82, v37
	s_delay_alu instid0(VALU_DEP_2) | instskip(SKIP_1) | instid1(VALU_DEP_3)
	v_and_b32_e32 v47, 0xff, v34
	v_mul_lo_u16 v34, v46, 9
	v_and_b32_e32 v37, 0xff, v32
	v_mul_u32_u24_e32 v46, 0xb4, v46
	s_delay_alu instid0(VALU_DEP_3) | instskip(NEXT) | instid1(VALU_DEP_3)
	v_sub_nc_u16 v32, v83, v34
	v_lshlrev_b32_e32 v34, 5, v37
	global_load_b128 v[121:124], v34, s[4:5] offset:48
	s_wait_loadcnt 0x2
	v_dual_mul_f32 v100, v16, v70 :: v_dual_lshlrev_b32 v43, 5, v45
	global_load_b128 v[102:105], v43, s[4:5] offset:48
	v_lshlrev_b32_e32 v35, 5, v47
	global_load_b128 v[109:112], v43, s[4:5] offset:64
	v_and_b32_e32 v44, 0xffff, v44
	s_wait_loadcnt 0x3
	v_dual_mul_f32 v98, v4, v87 :: v_dual_lshlrev_b32 v41, 2, v41
	v_dual_mul_f32 v96, v26, v89 :: v_dual_mul_f32 v99, v60, v68
	s_wait_loadcnt 0x1
	v_mul_f32_e32 v90, v17, v105
	s_clause 0x1
	global_load_b128 v[113:116], v35, s[4:5] offset:48
	global_load_b128 v[117:120], v35, s[4:5] offset:64
	v_and_b32_e32 v43, 0xffff, v32
	s_wait_loadcnt 0x2
	v_dual_mul_f32 v91, v22, v110 :: v_dual_mul_f32 v92, v27, v112
	s_delay_alu instid0(VALU_DEP_2)
	v_lshlrev_b32_e32 v32, 5, v43
	s_clause 0x2
	global_load_b128 v[125:128], v34, s[4:5] offset:64
	global_load_b128 v[129:132], v32, s[4:5] offset:48
	;; [unrolled: 1-line block ×3, first 2 shown]
	ds_load_b32 v32, v52
	ds_load_2addr_b32 v[93:94], v12 offset0:118 offset1:181
	ds_load_2addr_b32 v[137:138], v38 offset0:114 offset1:177
	;; [unrolled: 1-line block ×7, first 2 shown]
	ds_load_b32 v33, v54
	ds_load_2addr_b32 v[149:150], v29 offset0:120 offset1:183
	ds_load_2addr_b32 v[151:152], v62 offset0:110 offset1:173
	ds_load_b32 v64, v56
	ds_load_b32 v13, v55
	;; [unrolled: 1-line block ×4, first 2 shown]
	ds_load_b32 v153, v52 offset:6048
	v_and_b32_e32 v36, 0xffff, v36
	v_and_b32_e32 v39, 0xffff, v39
	v_and_b32_e32 v42, 0xffff, v42
	v_lshlrev_b32_e32 v45, 2, v45
	global_wb scope:SCOPE_SE
	s_wait_loadcnt_dscnt 0x0
	v_mul_f32_e32 v101, v94, v105
	v_mul_f32_e32 v97, v138, v87
	v_mul_u32_u24_e32 v36, 0xb4, v36
	v_mul_f32_e32 v87, v139, v89
	v_mul_u32_u24_e32 v48, 0xb4, v42
	v_mul_f32_e32 v154, v141, v103
	v_lshlrev_b32_e32 v47, 2, v47
	v_dual_mul_f32 v155, v143, v110 :: v_dual_mul_f32 v110, v140, v112
	v_mul_u32_u24_e32 v39, 0xb4, v39
	v_dual_mul_f32 v95, v64, v68 :: v_dual_mul_f32 v68, v93, v70
	v_mul_f32_e32 v89, v24, v103
	v_mul_u32_u24_e32 v44, 0xb4, v44
	v_add3_u32 v42, 0, v36, v41
	s_delay_alu instid0(VALU_DEP_4)
	v_fma_f32 v105, v60, v67, -v95
	v_fma_f32 v106, v16, v69, -v68
	;; [unrolled: 1-line block ×4, first 2 shown]
	v_dual_fmac_f32 v96, v139, v88 :: v_dual_fmac_f32 v89, v141, v102
	v_fma_f32 v103, v24, v102, -v154
	v_fmac_f32_e32 v92, v140, v111
	s_barrier_signal -1
	s_barrier_wait -1
	global_inv scope:SCOPE_SE
	v_dual_fmac_f32 v99, v64, v67 :: v_dual_mul_f32 v112, v142, v114
	v_dual_mul_f32 v84, v23, v118 :: v_dual_lshlrev_b32 v37, 2, v37
	v_dual_mul_f32 v70, v25, v114 :: v_dual_lshlrev_b32 v43, 2, v43
	v_mul_f32_e32 v114, v145, v116
	v_dual_mul_f32 v71, v7, v116 :: v_dual_mul_f32 v116, v144, v118
	v_mul_f32_e32 v118, v147, v120
	v_dual_mul_f32 v85, v18, v120 :: v_dual_mul_f32 v120, v149, v122
	v_add3_u32 v41, 0, v39, v45
	v_add3_u32 v39, 0, v48, v47
	v_dual_mul_f32 v47, v20, v122 :: v_dual_mul_f32 v66, v19, v128
	v_mul_f32_e32 v122, v146, v124
	v_mul_f32_e32 v48, v8, v124
	;; [unrolled: 1-line block ×3, first 2 shown]
	v_dual_mul_f32 v65, v14, v126 :: v_dual_mul_f32 v126, v148, v128
	v_add3_u32 v37, 0, v44, v37
	v_add3_u32 v36, 0, v46, v43
	v_mul_f32_e32 v128, v150, v130
	v_dual_mul_f32 v44, v21, v130 :: v_dual_mul_f32 v45, v3, v132
	v_mul_f32_e32 v130, v137, v132
	v_dual_mul_f32 v132, v152, v134 :: v_dual_mul_f32 v43, v10, v136
	v_dual_mul_f32 v46, v15, v134 :: v_dual_fmac_f32 v71, v145, v115
	v_dual_mul_f32 v134, v153, v136 :: v_dual_fmac_f32 v91, v143, v109
	v_fma_f32 v101, v17, v104, -v101
	v_dual_fmac_f32 v90, v94, v104 :: v_dual_fmac_f32 v65, v151, v125
	v_fma_f32 v104, v27, v111, -v110
	v_fma_f32 v102, v22, v109, -v155
	;; [unrolled: 1-line block ×3, first 2 shown]
	v_dual_fmac_f32 v100, v93, v69 :: v_dual_fmac_f32 v85, v147, v119
	v_dual_fmac_f32 v98, v138, v86 :: v_dual_fmac_f32 v47, v149, v121
	v_fma_f32 v95, v25, v113, -v112
	v_fma_f32 v93, v7, v115, -v114
	;; [unrolled: 1-line block ×7, first 2 shown]
	v_dual_fmac_f32 v70, v142, v113 :: v_dual_fmac_f32 v45, v137, v131
	v_dual_fmac_f32 v84, v144, v117 :: v_dual_fmac_f32 v43, v153, v135
	v_fmac_f32_e32 v48, v146, v123
	v_dual_fmac_f32 v66, v148, v127 :: v_dual_sub_f32 v19, v107, v108
	v_fma_f32 v68, v21, v129, -v128
	v_fma_f32 v7, v3, v131, -v130
	;; [unrolled: 1-line block ×4, first 2 shown]
	v_dual_add_f32 v3, v28, v105 :: v_dual_add_f32 v4, v106, v107
	v_sub_f32_e32 v25, v104, v102
	v_dual_sub_f32 v10, v105, v106 :: v_dual_sub_f32 v111, v71, v84
	v_dual_sub_f32 v16, v108, v107 :: v_dual_add_f32 v109, v93, v94
	v_dual_add_f32 v17, v105, v108 :: v_dual_sub_f32 v18, v106, v105
	v_sub_f32_e32 v27, v101, v103
	v_dual_add_f32 v20, v63, v103 :: v_dual_sub_f32 v113, v97, v94
	v_dual_sub_f32 v22, v89, v92 :: v_dual_add_f32 v117, v30, v87
	v_dual_sub_f32 v60, v102, v104 :: v_dual_sub_f32 v119, v47, v66
	v_dual_fmac_f32 v46, v152, v133 :: v_dual_add_f32 v21, v101, v102
	v_dual_fmac_f32 v44, v150, v129 :: v_dual_sub_f32 v15, v100, v98
	v_dual_sub_f32 v24, v103, v101 :: v_dual_sub_f32 v115, v93, v95
	s_delay_alu instid0(VALU_DEP_3)
	v_dual_add_f32 v26, v103, v104 :: v_dual_sub_f32 v129, v45, v46
	v_dual_add_f32 v64, v31, v95 :: v_dual_sub_f32 v125, v86, v88
	v_add_f32_e32 v114, v95, v97
	v_dual_sub_f32 v116, v94, v97 :: v_dual_add_f32 v123, v87, v88
	v_dual_add_f32 v118, v8, v86 :: v_dual_add_f32 v127, v7, v67
	v_dual_sub_f32 v14, v99, v96 :: v_dual_sub_f32 v23, v90, v91
	v_dual_sub_f32 v110, v70, v85 :: v_dual_sub_f32 v121, v87, v8
	;; [unrolled: 1-line block ×3, first 2 shown]
	v_sub_f32_e32 v122, v88, v86
	v_dual_sub_f32 v124, v8, v87 :: v_dual_add_f32 v3, v3, v106
	v_add_f32_e32 v126, v11, v68
	v_fma_f32 v135, -0.5, v4, v28
	v_add_f32_e32 v16, v10, v16
	s_delay_alu instid0(VALU_DEP_4)
	v_dual_add_f32 v10, v20, v101 :: v_dual_add_f32 v3, v3, v107
	v_add_f32_e32 v20, v27, v60
	v_dual_add_f32 v27, v117, v8 :: v_dual_add_f32 v132, v68, v69
	v_dual_fmac_f32 v28, -0.5, v17 :: v_dual_add_f32 v17, v18, v19
	v_fma_f32 v18, -0.5, v21, v63
	v_dual_sub_f32 v120, v48, v65 :: v_dual_sub_f32 v133, v7, v68
	v_dual_sub_f32 v128, v44, v43 :: v_dual_fmac_f32 v63, -0.5, v26
	v_sub_f32_e32 v130, v68, v7
	v_add_f32_e32 v19, v24, v25
	v_add_f32_e32 v21, v64, v93
	v_fma_f32 v24, -0.5, v109, v31
	v_dual_fmac_f32 v31, -0.5, v114 :: v_dual_sub_f32 v134, v67, v69
	v_fma_f32 v64, -0.5, v118, v30
	v_fmac_f32_e32 v30, -0.5, v123
	v_dual_add_f32 v26, v115, v116 :: v_dual_fmamk_f32 v115, v14, 0x3f737871, v135
	v_dual_add_f32 v109, v121, v122 :: v_dual_add_f32 v60, v126, v7
	v_fmamk_f32 v121, v23, 0xbf737871, v63
	v_fma_f32 v4, -0.5, v127, v11
	v_fmac_f32_e32 v11, -0.5, v132
	v_dual_fmac_f32 v135, 0xbf737871, v14 :: v_dual_fmamk_f32 v116, v15, 0xbf737871, v28
	v_dual_add_f32 v21, v21, v94 :: v_dual_fmac_f32 v28, 0x3f737871, v15
	v_dual_add_f32 v27, v27, v86 :: v_dual_fmamk_f32 v118, v22, 0x3f737871, v18
	v_add_f32_e32 v25, v112, v113
	v_dual_add_f32 v112, v124, v125 :: v_dual_add_f32 v117, v10, v102
	v_dual_add_f32 v113, v130, v131 :: v_dual_add_f32 v114, v133, v134
	v_fmac_f32_e32 v63, 0x3f737871, v23
	v_dual_fmac_f32 v18, 0xbf737871, v22 :: v_dual_fmamk_f32 v123, v111, 0xbf737871, v31
	v_fmamk_f32 v122, v110, 0x3f737871, v24
	v_dual_fmac_f32 v24, 0xbf737871, v110 :: v_dual_add_f32 v3, v3, v108
	v_dual_fmac_f32 v31, 0x3f737871, v111 :: v_dual_fmamk_f32 v124, v119, 0x3f737871, v64
	v_fmac_f32_e32 v64, 0xbf737871, v119
	v_dual_fmamk_f32 v125, v120, 0xbf737871, v30 :: v_dual_fmamk_f32 v10, v129, 0xbf737871, v11
	v_fmac_f32_e32 v30, 0x3f737871, v120
	v_dual_add_f32 v126, v60, v67 :: v_dual_fmac_f32 v121, 0x3f167918, v22
	v_fmamk_f32 v60, v128, 0x3f737871, v4
	v_fmac_f32_e32 v4, 0xbf737871, v128
	v_fmac_f32_e32 v11, 0x3f737871, v129
	v_dual_fmac_f32 v115, 0x3f167918, v15 :: v_dual_fmac_f32 v116, 0x3f167918, v14
	v_dual_fmac_f32 v135, 0xbf167918, v15 :: v_dual_fmac_f32 v28, 0xbf167918, v14
	;; [unrolled: 1-line block ×3, first 2 shown]
	v_dual_add_f32 v14, v117, v104 :: v_dual_fmac_f32 v63, 0xbf167918, v22
	v_dual_fmac_f32 v18, 0xbf167918, v23 :: v_dual_fmac_f32 v31, 0xbf167918, v110
	v_dual_add_f32 v15, v21, v97 :: v_dual_fmac_f32 v122, 0x3f167918, v111
	v_dual_fmac_f32 v24, 0xbf167918, v111 :: v_dual_fmac_f32 v11, 0xbf167918, v128
	v_add_f32_e32 v21, v27, v88
	v_fmac_f32_e32 v64, 0xbf167918, v120
	v_fmac_f32_e32 v30, 0xbf167918, v119
	v_dual_fmac_f32 v124, 0x3f167918, v120 :: v_dual_fmac_f32 v125, 0x3f167918, v119
	v_dual_add_f32 v22, v126, v69 :: v_dual_fmac_f32 v115, 0x3e9e377a, v16
	v_fmac_f32_e32 v60, 0x3f167918, v129
	v_fmac_f32_e32 v4, 0xbf167918, v129
	;; [unrolled: 1-line block ×3, first 2 shown]
	v_dual_fmac_f32 v135, 0x3e9e377a, v16 :: v_dual_fmac_f32 v116, 0x3e9e377a, v17
	v_dual_fmac_f32 v28, 0x3e9e377a, v17 :: v_dual_fmac_f32 v121, 0x3e9e377a, v20
	v_dual_fmac_f32 v118, 0x3e9e377a, v19 :: v_dual_fmac_f32 v63, 0x3e9e377a, v20
	v_dual_fmac_f32 v18, 0x3e9e377a, v19 :: v_dual_fmac_f32 v123, 0x3e9e377a, v26
	v_dual_fmac_f32 v122, 0x3e9e377a, v25 :: v_dual_fmac_f32 v31, 0x3e9e377a, v26
	v_dual_fmac_f32 v24, 0x3e9e377a, v25 :: v_dual_fmac_f32 v125, 0x3e9e377a, v112
	v_fmac_f32_e32 v64, 0x3e9e377a, v109
	v_fmac_f32_e32 v30, 0x3e9e377a, v112
	v_dual_fmac_f32 v124, 0x3e9e377a, v109 :: v_dual_fmac_f32 v11, 0x3e9e377a, v114
	v_fmac_f32_e32 v60, 0x3e9e377a, v113
	v_fmac_f32_e32 v4, 0x3e9e377a, v113
	v_fmac_f32_e32 v10, 0x3e9e377a, v114
	ds_store_2addr_b32 v42, v3, v115 offset1:9
	ds_store_2addr_b32 v42, v116, v28 offset0:18 offset1:27
	ds_store_b32 v42, v135 offset:144
	ds_store_2addr_b32 v41, v14, v118 offset1:9
	ds_store_2addr_b32 v41, v121, v63 offset0:18 offset1:27
	ds_store_b32 v41, v18 offset:144
	ds_store_2addr_b32 v39, v15, v122 offset1:9
	ds_store_2addr_b32 v39, v123, v31 offset0:18 offset1:27
	ds_store_b32 v39, v24 offset:144
	ds_store_2addr_b32 v37, v21, v124 offset1:9
	ds_store_2addr_b32 v37, v125, v30 offset0:18 offset1:27
	ds_store_b32 v37, v64 offset:144
	ds_store_2addr_b32 v36, v22, v60 offset1:9
	ds_store_2addr_b32 v36, v10, v11 offset0:18 offset1:27
	ds_store_b32 v36, v4 offset:144
	global_wb scope:SCOPE_SE
	s_wait_dscnt 0x0
	s_barrier_signal -1
	s_barrier_wait -1
	global_inv scope:SCOPE_SE
	ds_load_2addr_b32 v[30:31], v52 offset1:225
	ds_load_2addr_b32 v[28:29], v29 offset0:66 offset1:129
	ds_load_2addr_b32 v[16:17], v12 offset0:64 offset1:163
	;; [unrolled: 1-line block ×8, first 2 shown]
	ds_load_b32 v62, v53
	ds_load_b32 v63, v51
	ds_load_b32 v64, v52 offset:5904
	s_and_saveexec_b32 s1, s0
	s_cbranch_execz .LBB0_29
; %bb.28:
	v_add_nc_u32_e32 v2, 0x600, v52
	v_add_nc_u32_e32 v3, 0xd80, v52
	v_add_nc_u32_e32 v12, 0x1480, v52
	ds_load_b32 v60, v54
	ds_load_2addr_b32 v[10:11], v2 offset0:30 offset1:255
	ds_load_2addr_b32 v[4:5], v3 offset1:225
	ds_load_2addr_b32 v[2:3], v12 offset0:2 offset1:227
.LBB0_29:
	s_wait_alu 0xfffe
	s_or_b32 exec_lo, exec_lo, s1
	v_dual_add_f32 v12, v100, v98 :: v_dual_sub_f32 v49, v106, v107
	v_dual_add_f32 v38, v32, v99 :: v_dual_sub_f32 v61, v99, v100
	v_sub_f32_e32 v40, v105, v108
	s_delay_alu instid0(VALU_DEP_3) | instskip(SKIP_3) | instid1(VALU_DEP_4)
	v_fma_f32 v105, -0.5, v12, v32
	v_dual_sub_f32 v12, v96, v98 :: v_dual_sub_f32 v107, v98, v96
	v_dual_add_f32 v106, v99, v96 :: v_dual_sub_f32 v99, v100, v99
	v_add_f32_e32 v38, v38, v100
	v_fmamk_f32 v100, v40, 0xbf737871, v105
	s_delay_alu instid0(VALU_DEP_4)
	v_add_f32_e32 v12, v61, v12
	v_fmac_f32_e32 v105, 0x3f737871, v40
	v_dual_add_f32 v61, v90, v91 :: v_dual_fmac_f32 v32, -0.5, v106
	global_wb scope:SCOPE_SE
	s_wait_dscnt 0x0
	s_barrier_signal -1
	v_dual_fmac_f32 v105, 0x3f167918, v49 :: v_dual_add_f32 v38, v38, v98
	v_fma_f32 v106, -0.5, v61, v35
	v_sub_f32_e32 v61, v103, v104
	s_barrier_wait -1
	s_delay_alu instid0(VALU_DEP_3)
	v_fmac_f32_e32 v105, 0x3e9e377a, v12
	v_add_f32_e32 v38, v38, v96
	v_add_f32_e32 v96, v99, v107
	;; [unrolled: 1-line block ×3, first 2 shown]
	v_dual_fmac_f32 v100, 0xbf167918, v49 :: v_dual_add_f32 v103, v89, v92
	v_fmamk_f32 v98, v49, 0x3f737871, v32
	v_fmac_f32_e32 v32, 0xbf737871, v49
	v_fmamk_f32 v49, v61, 0xbf737871, v106
	s_delay_alu instid0(VALU_DEP_4)
	v_fmac_f32_e32 v100, 0x3e9e377a, v12
	v_add_f32_e32 v12, v99, v90
	v_sub_f32_e32 v99, v101, v102
	v_sub_f32_e32 v101, v89, v90
	v_dual_fmac_f32 v35, -0.5, v103 :: v_dual_fmac_f32 v98, 0xbf167918, v40
	v_fmac_f32_e32 v32, 0x3f167918, v40
	s_delay_alu instid0(VALU_DEP_4)
	v_fmac_f32_e32 v49, 0xbf167918, v99
	v_sub_f32_e32 v102, v92, v91
	v_add_f32_e32 v12, v12, v91
	v_fmac_f32_e32 v106, 0x3f737871, v61
	v_fmac_f32_e32 v32, 0x3e9e377a, v96
	global_inv scope:SCOPE_SE
	v_dual_add_f32 v40, v101, v102 :: v_dual_fmamk_f32 v101, v99, 0x3f737871, v35
	v_fmac_f32_e32 v35, 0xbf737871, v99
	v_sub_f32_e32 v7, v7, v67
	s_delay_alu instid0(VALU_DEP_3)
	v_fmac_f32_e32 v101, 0xbf167918, v61
	v_fmac_f32_e32 v98, 0x3e9e377a, v96
	v_add_f32_e32 v96, v12, v92
	v_dual_sub_f32 v12, v90, v89 :: v_dual_sub_f32 v89, v91, v92
	v_dual_add_f32 v91, v71, v84 :: v_dual_sub_f32 v92, v93, v94
	v_fmac_f32_e32 v35, 0x3f167918, v61
	v_add_f32_e32 v61, v70, v85
	s_delay_alu instid0(VALU_DEP_4)
	v_add_f32_e32 v12, v12, v89
	v_add_f32_e32 v90, v34, v70
	v_sub_f32_e32 v93, v70, v71
	v_fmac_f32_e32 v106, 0x3f167918, v99
	v_fmac_f32_e32 v49, 0x3e9e377a, v40
	;; [unrolled: 1-line block ×3, first 2 shown]
	v_add_f32_e32 v89, v90, v71
	v_fma_f32 v90, -0.5, v91, v34
	v_dual_sub_f32 v91, v95, v97 :: v_dual_fmac_f32 v106, 0x3e9e377a, v40
	v_sub_f32_e32 v94, v85, v84
	v_fmac_f32_e32 v34, -0.5, v61
	s_delay_alu instid0(VALU_DEP_3) | instskip(SKIP_2) | instid1(VALU_DEP_3)
	v_dual_add_f32 v40, v89, v84 :: v_dual_fmamk_f32 v89, v91, 0xbf737871, v90
	v_dual_sub_f32 v61, v71, v70 :: v_dual_sub_f32 v70, v84, v85
	v_dual_fmac_f32 v90, 0x3f737871, v91 :: v_dual_add_f32 v71, v48, v65
	v_fmac_f32_e32 v89, 0xbf167918, v92
	v_fmac_f32_e32 v35, 0x3e9e377a, v12
	s_delay_alu instid0(VALU_DEP_4)
	v_add_f32_e32 v61, v61, v70
	v_add_f32_e32 v12, v93, v94
	v_fmac_f32_e32 v90, 0x3f167918, v92
	v_sub_f32_e32 v84, v87, v88
	v_add_f32_e32 v87, v47, v66
	v_fma_f32 v71, -0.5, v71, v33
	v_fmac_f32_e32 v89, 0x3e9e377a, v12
	v_fmamk_f32 v93, v92, 0x3f737871, v34
	v_add_f32_e32 v40, v40, v85
	v_dual_add_f32 v70, v33, v47 :: v_dual_sub_f32 v85, v47, v48
	v_fmac_f32_e32 v33, -0.5, v87
	s_delay_alu instid0(VALU_DEP_4) | instskip(SKIP_2) | instid1(VALU_DEP_3)
	v_dual_fmac_f32 v93, 0xbf167918, v91 :: v_dual_sub_f32 v8, v8, v86
	v_dual_sub_f32 v86, v66, v65 :: v_dual_sub_f32 v47, v48, v47
	v_fmac_f32_e32 v34, 0xbf737871, v92
	v_fmac_f32_e32 v93, 0x3e9e377a, v61
	s_delay_alu instid0(VALU_DEP_3) | instskip(SKIP_3) | instid1(VALU_DEP_1)
	v_dual_add_f32 v85, v85, v86 :: v_dual_fmac_f32 v90, 0x3e9e377a, v12
	v_add_f32_e32 v12, v70, v48
	v_fmamk_f32 v70, v84, 0xbf737871, v71
	v_fmac_f32_e32 v71, 0x3f737871, v84
	v_dual_fmac_f32 v34, 0x3f167918, v91 :: v_dual_fmac_f32 v71, 0x3f167918, v8
	s_delay_alu instid0(VALU_DEP_1) | instskip(NEXT) | instid1(VALU_DEP_4)
	v_dual_fmac_f32 v34, 0x3e9e377a, v61 :: v_dual_add_f32 v61, v13, v44
	v_fmac_f32_e32 v70, 0xbf167918, v8
	s_delay_alu instid0(VALU_DEP_3) | instskip(NEXT) | instid1(VALU_DEP_2)
	v_fmac_f32_e32 v71, 0x3e9e377a, v85
	v_fmac_f32_e32 v70, 0x3e9e377a, v85
	v_fmamk_f32 v85, v8, 0x3f737871, v33
	s_delay_alu instid0(VALU_DEP_1) | instskip(NEXT) | instid1(VALU_DEP_1)
	v_dual_fmac_f32 v85, 0xbf167918, v84 :: v_dual_add_f32 v12, v12, v65
	v_dual_fmac_f32 v33, 0xbf737871, v8 :: v_dual_add_f32 v86, v12, v66
	s_delay_alu instid0(VALU_DEP_1) | instskip(SKIP_2) | instid1(VALU_DEP_3)
	v_dual_fmac_f32 v33, 0x3f167918, v84 :: v_dual_add_f32 v12, v45, v46
	v_dual_sub_f32 v48, v65, v66 :: v_dual_sub_f32 v65, v68, v69
	v_sub_f32_e32 v66, v43, v46
	v_fma_f32 v8, -0.5, v12, v13
	s_delay_alu instid0(VALU_DEP_3) | instskip(NEXT) | instid1(VALU_DEP_2)
	v_dual_add_f32 v12, v47, v48 :: v_dual_add_f32 v47, v61, v45
	v_dual_add_f32 v48, v44, v43 :: v_dual_fmamk_f32 v61, v65, 0xbf737871, v8
	s_delay_alu instid0(VALU_DEP_2) | instskip(SKIP_1) | instid1(VALU_DEP_3)
	v_fmac_f32_e32 v85, 0x3e9e377a, v12
	v_fmac_f32_e32 v33, 0x3e9e377a, v12
	v_fmac_f32_e32 v13, -0.5, v48
	v_dual_add_f32 v47, v47, v46 :: v_dual_sub_f32 v48, v44, v45
	v_fmac_f32_e32 v61, 0xbf167918, v7
	v_fmac_f32_e32 v8, 0x3f737871, v65
	v_dual_sub_f32 v44, v45, v44 :: v_dual_sub_f32 v45, v46, v43
	v_fmamk_f32 v12, v7, 0x3f737871, v13
	v_dual_fmac_f32 v13, 0xbf737871, v7 :: v_dual_add_f32 v46, v48, v66
	s_delay_alu instid0(VALU_DEP_3) | instskip(NEXT) | instid1(VALU_DEP_3)
	v_dual_fmac_f32 v8, 0x3f167918, v7 :: v_dual_add_f32 v7, v44, v45
	v_dual_fmac_f32 v12, 0xbf167918, v65 :: v_dual_add_f32 v43, v47, v43
	s_delay_alu instid0(VALU_DEP_3) | instskip(NEXT) | instid1(VALU_DEP_4)
	v_fmac_f32_e32 v13, 0x3f167918, v65
	v_fmac_f32_e32 v61, 0x3e9e377a, v46
	s_delay_alu instid0(VALU_DEP_4) | instskip(NEXT) | instid1(VALU_DEP_4)
	v_fmac_f32_e32 v8, 0x3e9e377a, v46
	v_fmac_f32_e32 v12, 0x3e9e377a, v7
	s_delay_alu instid0(VALU_DEP_4)
	v_fmac_f32_e32 v13, 0x3e9e377a, v7
	ds_store_2addr_b32 v42, v38, v100 offset1:9
	ds_store_2addr_b32 v42, v98, v32 offset0:18 offset1:27
	ds_store_b32 v42, v105 offset:144
	ds_store_2addr_b32 v41, v96, v49 offset1:9
	ds_store_2addr_b32 v41, v101, v35 offset0:18 offset1:27
	ds_store_b32 v41, v106 offset:144
	;; [unrolled: 3-line block ×5, first 2 shown]
	v_add_nc_u32_e32 v36, 0xc00, v52
	v_add_nc_u32_e32 v7, 0x600, v52
	;; [unrolled: 1-line block ×7, first 2 shown]
	global_wb scope:SCOPE_SE
	s_wait_dscnt 0x0
	s_barrier_signal -1
	s_barrier_wait -1
	global_inv scope:SCOPE_SE
	ds_load_2addr_b32 v[32:33], v52 offset1:225
	ds_load_2addr_b32 v[40:41], v7 offset0:66 offset1:129
	ds_load_2addr_b32 v[34:35], v34 offset0:64 offset1:163
	;; [unrolled: 1-line block ×8, first 2 shown]
	ds_load_b32 v65, v53
	ds_load_b32 v66, v51
	ds_load_b32 v67, v52 offset:5904
	s_and_saveexec_b32 s1, s0
	s_cbranch_execz .LBB0_31
; %bb.30:
	v_add_nc_u32_e32 v6, 0xd80, v52
	v_add_nc_u32_e32 v68, 0x1480, v52
	ds_load_b32 v61, v54
	ds_load_2addr_b32 v[12:13], v7 offset0:30 offset1:255
	ds_load_2addr_b32 v[8:9], v6 offset1:225
	ds_load_2addr_b32 v[6:7], v68 offset0:2 offset1:227
.LBB0_31:
	s_wait_alu 0xfffe
	s_or_b32 exec_lo, exec_lo, s1
	v_subrev_nc_u32_e32 v68, 45, v73
	v_cmp_gt_u32_e64 s1, 45, v73
	v_mov_b32_e32 v69, 0
	v_mul_lo_u16 v59, 0x6d, v59
	v_mul_lo_u16 v58, 0x6d, v58
	;; [unrolled: 1-line block ×3, first 2 shown]
	s_wait_alu 0xf1ff
	v_cndmask_b32_e64 v70, v68, v73, s1
	v_lshrrev_b16 v59, 8, v59
	v_lshrrev_b16 v58, 8, v58
	;; [unrolled: 1-line block ×3, first 2 shown]
	s_delay_alu instid0(VALU_DEP_4) | instskip(NEXT) | instid1(VALU_DEP_4)
	v_mul_i32_i24_e32 v68, 6, v70
	v_sub_nc_u16 v71, v80, v59
	s_delay_alu instid0(VALU_DEP_2) | instskip(NEXT) | instid1(VALU_DEP_1)
	v_lshlrev_b64_e32 v[68:69], 3, v[68:69]
	v_add_co_u32 v68, s1, s4, v68
	s_wait_alu 0xf1ff
	s_delay_alu instid0(VALU_DEP_2)
	v_add_co_ci_u32_e64 v69, s1, s5, v69, s1
	v_cmp_lt_u32_e64 s1, 44, v73
	s_clause 0x2
	global_load_b128 v[87:90], v[68:69], off offset:336
	global_load_b128 v[92:95], v[68:69], off offset:352
	;; [unrolled: 1-line block ×3, first 2 shown]
	v_lshrrev_b16 v68, 1, v71
	v_sub_nc_u16 v69, v81, v58
	v_lshlrev_b32_e32 v70, 2, v70
	s_delay_alu instid0(VALU_DEP_3) | instskip(NEXT) | instid1(VALU_DEP_1)
	v_and_b32_e32 v68, 0x7f, v68
	v_add_nc_u16 v59, v68, v59
	s_delay_alu instid0(VALU_DEP_4) | instskip(SKIP_1) | instid1(VALU_DEP_3)
	v_lshrrev_b16 v68, 1, v69
	v_sub_nc_u16 v69, v82, v57
	v_lshrrev_b16 v59, 5, v59
	s_delay_alu instid0(VALU_DEP_3) | instskip(NEXT) | instid1(VALU_DEP_2)
	v_and_b32_e32 v68, 0x7f, v68
	v_mul_lo_u16 v71, v59, 45
	s_delay_alu instid0(VALU_DEP_2) | instskip(SKIP_2) | instid1(VALU_DEP_4)
	v_add_nc_u16 v58, v68, v58
	v_lshrrev_b16 v68, 1, v69
	v_and_b32_e32 v59, 0xffff, v59
	v_sub_nc_u16 v69, v80, v71
	s_delay_alu instid0(VALU_DEP_4) | instskip(NEXT) | instid1(VALU_DEP_4)
	v_lshrrev_b16 v58, 5, v58
	v_and_b32_e32 v68, 0x7f, v68
	s_delay_alu instid0(VALU_DEP_4) | instskip(NEXT) | instid1(VALU_DEP_4)
	v_mul_u32_u24_e32 v59, 0x4ec, v59
	v_and_b32_e32 v69, 0xff, v69
	s_delay_alu instid0(VALU_DEP_4) | instskip(SKIP_1) | instid1(VALU_DEP_2)
	v_mul_lo_u16 v71, v58, 45
	v_and_b32_e32 v58, 0xffff, v58
	v_sub_nc_u16 v71, v81, v71
	s_delay_alu instid0(VALU_DEP_1) | instskip(NEXT) | instid1(VALU_DEP_1)
	v_and_b32_e32 v71, 0xff, v71
	v_mul_u32_u24_e32 v84, 6, v71
	s_delay_alu instid0(VALU_DEP_1)
	v_lshlrev_b32_e32 v84, 3, v84
	s_clause 0x1
	global_load_b128 v[117:120], v84, s[4:5] offset:352
	global_load_b128 v[113:116], v84, s[4:5] offset:336
	s_wait_loadcnt_dscnt 0x309
	v_dual_mul_f32 v86, v33, v88 :: v_dual_mul_f32 v91, v35, v93
	v_add_nc_u16 v57, v68, v57
	v_mul_u32_u24_e32 v68, 6, v69
	s_wait_dscnt 0x8
	v_dual_mul_f32 v96, v48, v95 :: v_dual_lshlrev_b32 v69, 2, v69
	v_fma_f32 v91, v17, v92, -v91
	v_lshrrev_b16 v57, 5, v57
	s_wait_loadcnt 0x2
	v_dual_mul_f32 v85, v15, v98 :: v_dual_lshlrev_b32 v68, 3, v68
	s_delay_alu instid0(VALU_DEP_2)
	v_mul_lo_u16 v57, v57, 45
	s_clause 0x2
	global_load_b128 v[101:104], v68, s[4:5] offset:336
	global_load_b128 v[105:108], v68, s[4:5] offset:352
	;; [unrolled: 1-line block ×3, first 2 shown]
	v_sub_nc_u16 v57, v82, v57
	s_delay_alu instid0(VALU_DEP_1) | instskip(NEXT) | instid1(VALU_DEP_1)
	v_and_b32_e32 v57, 0xff, v57
	v_mul_u32_u24_e32 v68, 6, v57
	s_delay_alu instid0(VALU_DEP_1)
	v_lshlrev_b32_e32 v68, 3, v68
	s_clause 0x3
	global_load_b128 v[121:124], v84, s[4:5] offset:368
	global_load_b128 v[125:128], v68, s[4:5] offset:336
	;; [unrolled: 1-line block ×4, first 2 shown]
	s_wait_alu 0xf1ff
	v_cndmask_b32_e64 v68, 0, 0x4ec, s1
	v_mul_u32_u24_e32 v84, 0x4ec, v58
	global_wb scope:SCOPE_SE
	s_wait_loadcnt_dscnt 0x0
	s_barrier_signal -1
	s_barrier_wait -1
	v_add3_u32 v58, 0, v68, v70
	v_dual_mul_f32 v70, v31, v88 :: v_dual_lshlrev_b32 v71, 2, v71
	v_add3_u32 v68, 0, v59, v69
	v_dual_mul_f32 v88, v40, v90 :: v_dual_mul_f32 v69, v17, v93
	v_mul_f32_e32 v93, v24, v100
	s_delay_alu instid0(VALU_DEP_4) | instskip(SKIP_1) | instid1(VALU_DEP_4)
	v_add3_u32 v59, 0, v84, v71
	v_dual_mul_f32 v84, v26, v95 :: v_dual_mul_f32 v95, v37, v98
	v_fmac_f32_e32 v69, v35, v92
	v_dual_mul_f32 v98, v46, v100 :: v_dual_mul_f32 v71, v28, v90
	v_fma_f32 v90, v31, v87, -v86
	v_fma_f32 v88, v28, v89, -v88
	;; [unrolled: 1-line block ×3, first 2 shown]
	s_delay_alu instid0(VALU_DEP_4) | instskip(SKIP_2) | instid1(VALU_DEP_4)
	v_fma_f32 v96, v24, v99, -v98
	v_fmac_f32_e32 v70, v33, v87
	v_fma_f32 v95, v15, v97, -v95
	v_dual_fmac_f32 v93, v46, v99 :: v_dual_add_f32 v26, v91, v92
	v_fmac_f32_e32 v84, v48, v94
	v_fmac_f32_e32 v71, v40, v89
	v_add_f32_e32 v15, v90, v96
	s_delay_alu instid0(VALU_DEP_4) | instskip(NEXT) | instid1(VALU_DEP_4)
	v_dual_add_f32 v17, v88, v95 :: v_dual_sub_f32 v24, v70, v93
	v_sub_f32_e32 v31, v84, v69
	v_fmac_f32_e32 v85, v37, v97
	global_inv scope:SCOPE_SE
	v_add_f32_e32 v33, v17, v15
	v_lshl_add_u32 v57, v57, 2, 0
	v_dual_sub_f32 v28, v71, v85 :: v_dual_sub_f32 v35, v17, v15
	v_sub_f32_e32 v15, v15, v26
	s_delay_alu instid0(VALU_DEP_2) | instskip(SKIP_2) | instid1(VALU_DEP_4)
	v_add_f32_e32 v37, v31, v28
	v_sub_f32_e32 v40, v31, v28
	v_dual_sub_f32 v28, v28, v24 :: v_dual_sub_f32 v17, v26, v17
	v_dual_add_f32 v26, v26, v33 :: v_dual_mul_f32 v15, 0x3f4a47b2, v15
	s_delay_alu instid0(VALU_DEP_1) | instskip(NEXT) | instid1(VALU_DEP_1)
	v_add_f32_e32 v100, v30, v26
	v_dual_fmamk_f32 v141, v26, 0xbf955555, v100 :: v_dual_mul_f32 v26, v16, v116
	v_mul_f32_e32 v142, v44, v102
	v_dual_sub_f32 v31, v24, v31 :: v_dual_add_f32 v24, v37, v24
	v_mul_f32_e32 v37, 0xbf08b237, v40
	v_mul_f32_e32 v40, 0x3f5ff5aa, v28
	v_dual_mul_f32 v33, 0x3d64c772, v17 :: v_dual_mul_f32 v86, v22, v102
	v_fmamk_f32 v98, v17, 0x3d64c772, v15
	v_mul_f32_e32 v102, v41, v104
	s_delay_alu instid0(VALU_DEP_4)
	v_fma_f32 v139, 0xbeae86e6, v31, -v40
	v_dual_mul_f32 v87, v29, v104 :: v_dual_mul_f32 v104, v42, v106
	v_dual_fmamk_f32 v137, v31, 0x3eae86e6, v37 :: v_dual_mul_f32 v48, v20, v106
	v_fma_f32 v138, 0x3f5ff5aa, v28, -v37
	v_fma_f32 v99, 0x3f3bfb3b, v35, -v33
	v_fma_f32 v140, 0xbf3bfb3b, v35, -v15
	s_delay_alu instid0(VALU_DEP_4)
	v_fmac_f32_e32 v137, 0x3ee1c552, v24
	v_dual_fmac_f32 v139, 0x3ee1c552, v24 :: v_dual_mul_f32 v94, v18, v110
	v_dual_fmac_f32 v138, 0x3ee1c552, v24 :: v_dual_mul_f32 v17, v23, v114
	v_dual_mul_f32 v106, v49, v108 :: v_dual_mul_f32 v33, v19, v122
	v_dual_mul_f32 v89, v27, v108 :: v_dual_mul_f32 v108, v38, v110
	v_dual_mul_f32 v110, v47, v112 :: v_dual_mul_f32 v15, v21, v118
	v_mul_f32_e32 v97, v25, v112
	v_mul_f32_e32 v112, v45, v114
	v_dual_mul_f32 v114, v34, v116 :: v_dual_mul_f32 v31, v4, v130
	v_mul_f32_e32 v116, v43, v118
	v_dual_mul_f32 v118, v36, v120 :: v_dual_add_f32 v143, v99, v141
	v_dual_mul_f32 v28, v14, v120 :: v_dual_fmac_f32 v87, v41, v103
	v_mul_f32_e32 v120, v39, v122
	v_dual_mul_f32 v122, v67, v124 :: v_dual_fmac_f32 v89, v49, v107
	v_dual_mul_f32 v46, v64, v124 :: v_dual_fmac_f32 v97, v47, v111
	v_dual_mul_f32 v124, v12, v126 :: v_dual_mul_f32 v35, v5, v132
	v_dual_mul_f32 v24, v10, v126 :: v_dual_fmac_f32 v17, v45, v113
	v_dual_mul_f32 v126, v13, v128 :: v_dual_fmac_f32 v15, v43, v117
	v_fma_f32 v41, v20, v105, -v104
	v_fma_f32 v20, v21, v117, -v116
	;; [unrolled: 1-line block ×3, first 2 shown]
	v_fmac_f32_e32 v94, v38, v109
	v_fma_f32 v21, v64, v123, -v122
	v_fmac_f32_e32 v46, v67, v123
	v_fmac_f32_e32 v48, v42, v105
	v_fma_f32 v42, v18, v109, -v108
	v_fma_f32 v18, v23, v113, -v112
	v_dual_mul_f32 v30, v11, v128 :: v_dual_fmac_f32 v31, v8, v129
	v_dual_mul_f32 v128, v8, v130 :: v_dual_fmac_f32 v33, v39, v121
	v_dual_mul_f32 v37, v2, v134 :: v_dual_mul_f32 v130, v9, v132
	v_dual_mul_f32 v132, v6, v134 :: v_dual_fmac_f32 v35, v9, v131
	v_mul_f32_e32 v134, v7, v136
	v_mul_f32_e32 v40, v3, v136
	v_fma_f32 v99, v22, v101, -v142
	v_fma_f32 v22, v27, v107, -v106
	;; [unrolled: 1-line block ×6, first 2 shown]
	v_add_f32_e32 v47, v20, v14
	v_dual_add_f32 v140, v140, v141 :: v_dual_sub_f32 v11, v87, v94
	v_add_f32_e32 v136, v98, v141
	v_fma_f32 v98, v29, v103, -v102
	v_add_f32_e32 v39, v18, v21
	v_dual_sub_f32 v43, v17, v46 :: v_dual_fmac_f32 v86, v44, v101
	v_fma_f32 v25, v10, v125, -v124
	v_add_f32_e32 v44, v16, v19
	v_add_f32_e32 v8, v99, v38
	;; [unrolled: 1-line block ×3, first 2 shown]
	v_fmac_f32_e32 v24, v12, v125
	v_add_f32_e32 v12, v41, v22
	v_fmac_f32_e32 v26, v34, v115
	v_fmac_f32_e32 v30, v13, v127
	v_dual_sub_f32 v13, v89, v48 :: v_dual_fmac_f32 v28, v36, v119
	v_sub_f32_e32 v9, v86, v97
	v_fma_f32 v34, v2, v133, -v132
	v_fmac_f32_e32 v37, v6, v133
	v_fma_f32 v29, v5, v131, -v130
	v_add_f32_e32 v5, v138, v143
	v_fma_f32 v36, v3, v135, -v134
	v_add_f32_e32 v3, v139, v140
	v_dual_add_f32 v2, v137, v136 :: v_dual_sub_f32 v49, v28, v15
	v_fma_f32 v27, v4, v129, -v128
	v_sub_f32_e32 v4, v143, v138
	v_sub_f32_e32 v6, v140, v139
	v_dual_fmac_f32 v40, v7, v135 :: v_dual_sub_f32 v7, v136, v137
	ds_store_2addr_b32 v58, v100, v2 offset1:45
	ds_store_2addr_b32 v58, v3, v4 offset0:90 offset1:135
	ds_store_2addr_b32 v58, v5, v6 offset0:180 offset1:225
	ds_store_b32 v58, v7 offset:1080
	v_sub_f32_e32 v5, v12, v10
	v_sub_f32_e32 v45, v26, v33
	v_add_f32_e32 v2, v10, v8
	v_dual_sub_f32 v3, v10, v8 :: v_dual_add_f32 v6, v13, v11
	v_sub_f32_e32 v7, v13, v11
	s_delay_alu instid0(VALU_DEP_4) | instskip(SKIP_1) | instid1(VALU_DEP_3)
	v_add_f32_e32 v64, v49, v45
	v_dual_sub_f32 v10, v11, v9 :: v_dual_add_f32 v11, v44, v39
	v_dual_sub_f32 v4, v8, v12 :: v_dual_mul_f32 v7, 0xbf08b237, v7
	v_sub_f32_e32 v8, v9, v13
	v_sub_f32_e32 v67, v49, v45
	s_delay_alu instid0(VALU_DEP_4) | instskip(NEXT) | instid1(VALU_DEP_4)
	v_add_f32_e32 v11, v47, v11
	v_dual_sub_f32 v45, v45, v43 :: v_dual_mul_f32 v4, 0x3f4a47b2, v4
	v_add_f32_e32 v6, v6, v9
	v_mul_f32_e32 v9, 0x3d64c772, v5
	v_sub_f32_e32 v13, v44, v39
	v_sub_f32_e32 v39, v39, v47
	v_dual_fmamk_f32 v5, v5, 0x3d64c772, v4 :: v_dual_add_f32 v2, v12, v2
	v_sub_f32_e32 v49, v43, v49
	v_fma_f32 v9, 0x3f3bfb3b, v3, -v9
	s_delay_alu instid0(VALU_DEP_4) | instskip(NEXT) | instid1(VALU_DEP_4)
	v_dual_sub_f32 v44, v47, v44 :: v_dual_mul_f32 v39, 0x3f4a47b2, v39
	v_add_f32_e32 v63, v63, v2
	v_add_f32_e32 v43, v64, v43
	v_mul_f32_e32 v64, 0xbf08b237, v67
	v_mul_f32_e32 v67, 0x3f5ff5aa, v45
	;; [unrolled: 1-line block ×3, first 2 shown]
	v_fmamk_f32 v2, v2, 0xbf955555, v63
	s_delay_alu instid0(VALU_DEP_1) | instskip(SKIP_4) | instid1(VALU_DEP_2)
	v_add_f32_e32 v5, v5, v2
	v_fma_f32 v3, 0xbf3bfb3b, v3, -v4
	v_dual_add_f32 v9, v9, v2 :: v_dual_fmamk_f32 v4, v8, 0x3eae86e6, v7
	v_fma_f32 v7, 0x3f5ff5aa, v10, -v7
	v_fma_f32 v45, 0x3f5ff5aa, v45, -v64
	v_fmac_f32_e32 v7, 0x3ee1c552, v6
	v_mul_f32_e32 v12, 0x3f5ff5aa, v10
	s_delay_alu instid0(VALU_DEP_3) | instskip(NEXT) | instid1(VALU_DEP_2)
	v_fmac_f32_e32 v45, 0x3ee1c552, v43
	v_fma_f32 v8, 0xbeae86e6, v8, -v12
	v_fmamk_f32 v12, v44, 0x3d64c772, v39
	v_fma_f32 v44, 0x3f3bfb3b, v13, -v47
	v_fma_f32 v13, 0xbf3bfb3b, v13, -v39
	v_fmamk_f32 v39, v49, 0x3eae86e6, v64
	v_fma_f32 v47, 0xbeae86e6, v49, -v67
	v_fmac_f32_e32 v4, 0x3ee1c552, v6
	s_delay_alu instid0(VALU_DEP_3) | instskip(NEXT) | instid1(VALU_DEP_3)
	v_dual_fmac_f32 v8, 0x3ee1c552, v6 :: v_dual_fmac_f32 v39, 0x3ee1c552, v43
	v_fmac_f32_e32 v47, 0x3ee1c552, v43
	v_sub_f32_e32 v43, v9, v7
	v_dual_add_f32 v7, v7, v9 :: v_dual_add_f32 v10, v62, v11
	s_delay_alu instid0(VALU_DEP_1) | instskip(NEXT) | instid1(VALU_DEP_1)
	v_fmamk_f32 v6, v11, 0xbf955555, v10
	v_add_f32_e32 v11, v44, v6
	v_add_f32_e32 v2, v3, v2
	;; [unrolled: 1-line block ×5, first 2 shown]
	s_delay_alu instid0(VALU_DEP_4)
	v_dual_sub_f32 v4, v5, v4 :: v_dual_add_f32 v13, v8, v2
	v_dual_sub_f32 v2, v2, v8 :: v_dual_sub_f32 v9, v11, v45
	v_add_f32_e32 v5, v39, v3
	v_dual_add_f32 v8, v47, v6 :: v_dual_add_f32 v11, v45, v11
	v_sub_f32_e32 v6, v6, v47
	v_sub_f32_e32 v3, v3, v39
	ds_store_2addr_b32 v68, v63, v12 offset1:45
	ds_store_2addr_b32 v68, v13, v43 offset0:90 offset1:135
	ds_store_2addr_b32 v68, v7, v2 offset0:180 offset1:225
	ds_store_b32 v68, v4 offset:1080
	ds_store_2addr_b32 v59, v10, v5 offset1:45
	ds_store_2addr_b32 v59, v8, v9 offset0:90 offset1:135
	ds_store_2addr_b32 v59, v11, v6 offset0:180 offset1:225
	ds_store_b32 v59, v3 offset:1080
	s_and_saveexec_b32 s1, s0
	s_cbranch_execz .LBB0_33
; %bb.32:
	v_dual_add_f32 v2, v25, v36 :: v_dual_add_f32 v3, v27, v29
	v_dual_add_f32 v4, v23, v34 :: v_dual_sub_f32 v9, v24, v40
	v_dual_sub_f32 v5, v35, v31 :: v_dual_sub_f32 v8, v30, v37
	s_delay_alu instid0(VALU_DEP_2) | instskip(NEXT) | instid1(VALU_DEP_2)
	v_dual_sub_f32 v6, v2, v3 :: v_dual_add_f32 v7, v4, v2
	v_dual_sub_f32 v10, v3, v4 :: v_dual_sub_f32 v39, v9, v5
	v_sub_f32_e32 v2, v4, v2
	s_delay_alu instid0(VALU_DEP_3) | instskip(SKIP_1) | instid1(VALU_DEP_4)
	v_dual_mul_f32 v6, 0x3f4a47b2, v6 :: v_dual_add_f32 v3, v3, v7
	v_sub_f32_e32 v11, v8, v9
	v_dual_sub_f32 v7, v5, v8 :: v_dual_mul_f32 v12, 0x3d64c772, v10
	s_delay_alu instid0(VALU_DEP_3) | instskip(NEXT) | instid1(VALU_DEP_3)
	v_dual_fmamk_f32 v10, v10, 0x3d64c772, v6 :: v_dual_add_f32 v13, v60, v3
	v_dual_add_f32 v5, v5, v8 :: v_dual_mul_f32 v4, 0x3f5ff5aa, v11
	v_fma_f32 v6, 0xbf3bfb3b, v2, -v6
	s_delay_alu instid0(VALU_DEP_4) | instskip(NEXT) | instid1(VALU_DEP_4)
	v_fma_f32 v2, 0x3f3bfb3b, v2, -v12
	v_fmamk_f32 v3, v3, 0xbf955555, v13
	s_delay_alu instid0(VALU_DEP_4) | instskip(SKIP_1) | instid1(VALU_DEP_3)
	v_add_f32_e32 v5, v5, v9
	v_fma_f32 v4, 0xbeae86e6, v39, -v4
	v_add_f32_e32 v6, v6, v3
	v_add_f32_e32 v2, v2, v3
	s_delay_alu instid0(VALU_DEP_3) | instskip(SKIP_1) | instid1(VALU_DEP_1)
	v_fmac_f32_e32 v4, 0x3ee1c552, v5
	v_mul_f32_e32 v7, 0xbf08b237, v7
	v_fma_f32 v8, 0x3f5ff5aa, v11, -v7
	v_fmamk_f32 v7, v39, 0x3eae86e6, v7
	v_add_nc_u32_e32 v11, 0x1400, v57
	s_delay_alu instid0(VALU_DEP_3) | instskip(NEXT) | instid1(VALU_DEP_3)
	v_fmac_f32_e32 v8, 0x3ee1c552, v5
	v_fmac_f32_e32 v7, 0x3ee1c552, v5
	s_delay_alu instid0(VALU_DEP_2) | instskip(SKIP_3) | instid1(VALU_DEP_3)
	v_dual_sub_f32 v9, v2, v8 :: v_dual_add_f32 v2, v8, v2
	v_add_f32_e32 v3, v10, v3
	v_dual_sub_f32 v5, v6, v4 :: v_dual_add_f32 v4, v4, v6
	v_add_nc_u32_e32 v10, 0x1200, v57
	v_add_f32_e32 v6, v7, v3
	v_sub_f32_e32 v3, v3, v7
	ds_store_2addr_b32 v10, v13, v6 offset0:108 offset1:153
	ds_store_2addr_b32 v11, v4, v9 offset0:70 offset1:115
	;; [unrolled: 1-line block ×3, first 2 shown]
	ds_store_b32 v57, v3 offset:6120
.LBB0_33:
	s_wait_alu 0xfffe
	s_or_b32 exec_lo, exec_lo, s1
	v_dual_add_f32 v2, v70, v93 :: v_dual_add_f32 v5, v69, v84
	v_dual_add_f32 v3, v71, v85 :: v_dual_sub_f32 v4, v90, v96
	v_sub_f32_e32 v6, v88, v95
	v_sub_f32_e32 v7, v92, v91
	global_wb scope:SCOPE_SE
	s_wait_dscnt 0x0
	v_add_f32_e32 v8, v3, v2
	v_dual_sub_f32 v9, v3, v2 :: v_dual_sub_f32 v2, v2, v5
	v_dual_sub_f32 v3, v5, v3 :: v_dual_add_f32 v10, v7, v6
	s_delay_alu instid0(VALU_DEP_3) | instskip(SKIP_2) | instid1(VALU_DEP_2)
	v_dual_add_f32 v5, v5, v8 :: v_dual_sub_f32 v8, v7, v6
	v_dual_sub_f32 v7, v4, v7 :: v_dual_sub_f32 v6, v6, v4
	s_barrier_signal -1
	v_dual_add_f32 v39, v32, v5 :: v_dual_add_f32 v4, v10, v4
	s_barrier_wait -1
	s_delay_alu instid0(VALU_DEP_2) | instskip(SKIP_3) | instid1(VALU_DEP_1)
	v_mul_f32_e32 v11, 0x3f5ff5aa, v6
	global_inv scope:SCOPE_SE
	v_fmamk_f32 v5, v5, 0xbf955555, v39
	v_mul_f32_e32 v2, 0x3f4a47b2, v2
	v_dual_mul_f32 v10, 0x3d64c772, v3 :: v_dual_fmamk_f32 v3, v3, 0x3d64c772, v2
	s_delay_alu instid0(VALU_DEP_1) | instskip(NEXT) | instid1(VALU_DEP_2)
	v_fma_f32 v10, 0x3f3bfb3b, v9, -v10
	v_dual_add_f32 v3, v3, v5 :: v_dual_mul_f32 v8, 0xbf08b237, v8
	v_fma_f32 v2, 0xbf3bfb3b, v9, -v2
	s_delay_alu instid0(VALU_DEP_2) | instskip(SKIP_1) | instid1(VALU_DEP_2)
	v_fmamk_f32 v9, v7, 0x3eae86e6, v8
	v_fma_f32 v7, 0xbeae86e6, v7, -v11
	v_dual_add_f32 v2, v2, v5 :: v_dual_fmac_f32 v9, 0x3ee1c552, v4
	s_delay_alu instid0(VALU_DEP_2) | instskip(NEXT) | instid1(VALU_DEP_2)
	v_fmac_f32_e32 v7, 0x3ee1c552, v4
	v_sub_f32_e32 v43, v3, v9
	v_fma_f32 v6, 0x3f5ff5aa, v6, -v8
	s_delay_alu instid0(VALU_DEP_1) | instskip(SKIP_3) | instid1(VALU_DEP_1)
	v_fmac_f32_e32 v6, 0x3ee1c552, v4
	v_add_f32_e32 v4, v86, v97
	v_sub_f32_e32 v44, v2, v7
	v_dual_add_f32 v8, v10, v5 :: v_dual_add_f32 v5, v87, v94
	v_add_f32_e32 v45, v6, v8
	s_delay_alu instid0(VALU_DEP_2) | instskip(SKIP_3) | instid1(VALU_DEP_3)
	v_dual_sub_f32 v47, v8, v6 :: v_dual_add_f32 v12, v5, v4
	v_dual_add_f32 v8, v48, v89 :: v_dual_sub_f32 v13, v5, v4
	v_sub_f32_e32 v10, v98, v42
	v_dual_sub_f32 v11, v22, v41 :: v_dual_sub_f32 v6, v99, v38
	v_sub_f32_e32 v4, v4, v8
	v_sub_f32_e32 v5, v8, v5
	v_add_f32_e32 v41, v7, v2
	s_delay_alu instid0(VALU_DEP_4)
	v_add_f32_e32 v22, v11, v10
	v_add_f32_e32 v7, v15, v28
	v_mul_f32_e32 v4, 0x3f4a47b2, v4
	v_add_f32_e32 v8, v8, v12
	v_dual_sub_f32 v12, v11, v10 :: v_dual_sub_f32 v11, v6, v11
	v_sub_f32_e32 v10, v10, v6
	v_add_f32_e32 v6, v22, v6
	v_dual_mul_f32 v22, 0x3d64c772, v5 :: v_dual_fmamk_f32 v5, v5, 0x3d64c772, v4
	v_add_f32_e32 v38, v66, v8
	v_fma_f32 v4, 0xbf3bfb3b, v13, -v4
	v_add_f32_e32 v42, v9, v3
	s_delay_alu instid0(VALU_DEP_4) | instskip(NEXT) | instid1(VALU_DEP_4)
	v_fma_f32 v22, 0x3f3bfb3b, v13, -v22
	v_dual_add_f32 v3, v26, v33 :: v_dual_fmamk_f32 v8, v8, 0xbf955555, v38
	v_dual_sub_f32 v9, v14, v20 :: v_dual_add_f32 v2, v17, v46
	s_delay_alu instid0(VALU_DEP_2) | instskip(SKIP_1) | instid1(VALU_DEP_1)
	v_add_f32_e32 v5, v5, v8
	v_mul_f32_e32 v12, 0xbf08b237, v12
	v_dual_add_f32 v4, v4, v8 :: v_dual_fmamk_f32 v13, v11, 0x3eae86e6, v12
	v_mul_f32_e32 v32, 0x3f5ff5aa, v10
	v_fma_f32 v10, 0x3f5ff5aa, v10, -v12
	s_delay_alu instid0(VALU_DEP_2) | instskip(SKIP_1) | instid1(VALU_DEP_2)
	v_fma_f32 v11, 0xbeae86e6, v11, -v32
	v_add_f32_e32 v12, v22, v8
	v_dual_sub_f32 v8, v16, v19 :: v_dual_fmac_f32 v11, 0x3ee1c552, v6
	s_delay_alu instid0(VALU_DEP_1) | instskip(SKIP_3) | instid1(VALU_DEP_3)
	v_dual_add_f32 v14, v9, v8 :: v_dual_sub_f32 v49, v4, v11
	v_fmac_f32_e32 v10, 0x3ee1c552, v6
	v_dual_fmac_f32 v13, 0x3ee1c552, v6 :: v_dual_sub_f32 v6, v18, v21
	v_add_nc_u32_e32 v18, 0x1000, v52
	v_add_f32_e32 v60, v10, v12
	v_sub_f32_e32 v62, v12, v10
	v_add_f32_e32 v10, v3, v2
	v_dual_sub_f32 v12, v3, v2 :: v_dual_add_f32 v71, v13, v5
	v_sub_f32_e32 v2, v2, v7
	v_sub_f32_e32 v3, v7, v3
	s_delay_alu instid0(VALU_DEP_4) | instskip(SKIP_2) | instid1(VALU_DEP_3)
	v_dual_add_f32 v7, v7, v10 :: v_dual_sub_f32 v10, v9, v8
	v_dual_sub_f32 v8, v8, v6 :: v_dual_sub_f32 v9, v6, v9
	v_add_f32_e32 v6, v14, v6
	v_add_f32_e32 v46, v65, v7
	s_delay_alu instid0(VALU_DEP_3) | instskip(SKIP_2) | instid1(VALU_DEP_4)
	v_dual_sub_f32 v48, v5, v13 :: v_dual_mul_f32 v15, 0x3f5ff5aa, v8
	v_mul_f32_e32 v14, 0x3d64c772, v3
	v_add_nc_u32_e32 v5, 0xa00, v52
	v_fmamk_f32 v7, v7, 0xbf955555, v46
	v_mul_f32_e32 v10, 0xbf08b237, v10
	v_fma_f32 v65, 0xbeae86e6, v9, -v15
	v_fma_f32 v14, 0x3f3bfb3b, v12, -v14
	v_add_f32_e32 v70, v11, v4
	v_add_nc_u32_e32 v4, 0x400, v52
	v_fmamk_f32 v63, v9, 0x3eae86e6, v10
	v_fmac_f32_e32 v65, 0x3ee1c552, v6
	v_dual_mul_f32 v2, 0x3f4a47b2, v2 :: v_dual_add_f32 v67, v14, v7
	s_delay_alu instid0(VALU_DEP_3) | instskip(NEXT) | instid1(VALU_DEP_2)
	v_fmac_f32_e32 v63, 0x3ee1c552, v6
	v_fmamk_f32 v3, v3, 0x3d64c772, v2
	v_fma_f32 v2, 0xbf3bfb3b, v12, -v2
	s_delay_alu instid0(VALU_DEP_2) | instskip(NEXT) | instid1(VALU_DEP_2)
	v_add_f32_e32 v66, v3, v7
	v_dual_add_f32 v69, v2, v7 :: v_dual_add_nc_u32 v2, 0x800, v52
	v_add_nc_u32_e32 v3, 0xc00, v52
	s_delay_alu instid0(VALU_DEP_2) | instskip(SKIP_1) | instid1(VALU_DEP_1)
	v_sub_f32_e32 v85, v69, v65
	v_fma_f32 v64, 0x3f5ff5aa, v8, -v10
	v_dual_add_f32 v65, v65, v69 :: v_dual_fmac_f32 v64, 0x3ee1c552, v6
	ds_load_b32 v32, v52
	ds_load_2addr_b32 v[6:7], v2 offset0:118 offset1:181
	v_add_nc_u32_e32 v2, 0x1200, v52
	ds_load_2addr_b32 v[8:9], v3 offset0:114 offset1:177
	v_add_nc_u32_e32 v3, 0xe00, v52
	ds_load_2addr_b32 v[10:11], v2 offset0:108 offset1:171
	ds_load_2addr_b32 v[16:17], v4 offset0:122 offset1:185
	v_add_nc_u32_e32 v2, 0x1400, v52
	ds_load_2addr_b32 v[19:20], v3 offset0:112 offset1:175
	;; [unrolled: 3-line block ×3, first 2 shown]
	ds_load_b32 v26, v53
	ds_load_b32 v22, v54
	ds_load_2addr_b32 v[4:5], v3 offset0:120 offset1:183
	ds_load_2addr_b32 v[2:3], v18 offset0:110 offset1:173
	ds_load_b32 v28, v56
	ds_load_b32 v18, v55
	;; [unrolled: 1-line block ×3, first 2 shown]
	ds_load_b32 v21, v52 offset:6048
	v_sub_f32_e32 v84, v66, v63
	v_add_f32_e32 v86, v64, v67
	v_sub_f32_e32 v64, v67, v64
	v_add_f32_e32 v63, v63, v66
	global_wb scope:SCOPE_SE
	s_wait_dscnt 0x0
	s_barrier_signal -1
	s_barrier_wait -1
	global_inv scope:SCOPE_SE
	ds_store_2addr_b32 v58, v39, v43 offset1:45
	ds_store_2addr_b32 v58, v44, v45 offset0:90 offset1:135
	ds_store_2addr_b32 v58, v47, v41 offset0:180 offset1:225
	ds_store_b32 v58, v42 offset:1080
	ds_store_2addr_b32 v68, v38, v48 offset1:45
	ds_store_2addr_b32 v68, v49, v60 offset0:90 offset1:135
	ds_store_2addr_b32 v68, v62, v70 offset0:180 offset1:225
	ds_store_b32 v68, v71 offset:1080
	;; [unrolled: 4-line block ×3, first 2 shown]
	s_and_saveexec_b32 s1, s0
	s_cbranch_execz .LBB0_35
; %bb.34:
	v_dual_add_f32 v24, v24, v40 :: v_dual_add_f32 v31, v31, v35
	v_dual_add_f32 v30, v30, v37 :: v_dual_sub_f32 v25, v25, v36
	v_sub_f32_e32 v23, v23, v34
	v_sub_f32_e32 v27, v29, v27
	s_delay_alu instid0(VALU_DEP_3) | instskip(SKIP_4) | instid1(VALU_DEP_3)
	v_add_f32_e32 v29, v30, v24
	v_sub_f32_e32 v34, v30, v24
	v_sub_f32_e32 v24, v24, v31
	;; [unrolled: 1-line block ×3, first 2 shown]
	v_add_f32_e32 v35, v27, v23
	v_dual_add_f32 v29, v31, v29 :: v_dual_mul_f32 v24, 0x3f4a47b2, v24
	s_delay_alu instid0(VALU_DEP_3) | instskip(NEXT) | instid1(VALU_DEP_2)
	v_dual_mul_f32 v36, 0x3d64c772, v30 :: v_dual_sub_f32 v31, v27, v23
	v_dual_sub_f32 v23, v23, v25 :: v_dual_fmamk_f32 v30, v30, 0x3d64c772, v24
	v_sub_f32_e32 v27, v25, v27
	v_add_f32_e32 v25, v35, v25
	v_fma_f32 v24, 0xbf3bfb3b, v34, -v24
	v_mul_f32_e32 v31, 0xbf08b237, v31
	v_add_f32_e32 v35, v61, v29
	v_fma_f32 v36, 0x3f3bfb3b, v34, -v36
	s_delay_alu instid0(VALU_DEP_2) | instskip(NEXT) | instid1(VALU_DEP_1)
	v_fmamk_f32 v29, v29, 0xbf955555, v35
	v_dual_add_f32 v24, v24, v29 :: v_dual_mul_f32 v37, 0x3f5ff5aa, v23
	v_fma_f32 v23, 0x3f5ff5aa, v23, -v31
	v_add_f32_e32 v30, v30, v29
	v_dual_fmamk_f32 v34, v27, 0x3eae86e6, v31 :: v_dual_add_f32 v31, v36, v29
	s_delay_alu instid0(VALU_DEP_4) | instskip(NEXT) | instid1(VALU_DEP_4)
	v_fma_f32 v27, 0xbeae86e6, v27, -v37
	v_fmac_f32_e32 v23, 0x3ee1c552, v25
	v_add_nc_u32_e32 v37, 0x1400, v57
	s_delay_alu instid0(VALU_DEP_3) | instskip(SKIP_1) | instid1(VALU_DEP_4)
	v_fmac_f32_e32 v27, 0x3ee1c552, v25
	v_fmac_f32_e32 v34, 0x3ee1c552, v25
	v_add_f32_e32 v36, v23, v31
	v_sub_f32_e32 v23, v31, v23
	v_add_nc_u32_e32 v31, 0x1200, v57
	v_sub_f32_e32 v29, v24, v27
	v_dual_sub_f32 v25, v30, v34 :: v_dual_add_f32 v24, v27, v24
	v_add_f32_e32 v27, v34, v30
	ds_store_2addr_b32 v31, v35, v25 offset0:108 offset1:153
	ds_store_2addr_b32 v37, v29, v36 offset0:70 offset1:115
	;; [unrolled: 1-line block ×3, first 2 shown]
	ds_store_b32 v57, v27 offset:6120
.LBB0_35:
	s_wait_alu 0xfffe
	s_or_b32 exec_lo, exec_lo, s1
	global_wb scope:SCOPE_SE
	s_wait_dscnt 0x0
	s_barrier_signal -1
	s_barrier_wait -1
	global_inv scope:SCOPE_SE
	s_and_saveexec_b32 s0, vcc_lo
	s_cbranch_execz .LBB0_37
; %bb.36:
	v_dual_mov_b32 v24, 0 :: v_dual_lshlrev_b32 v23, 2, v83
	v_add_nc_u32_e32 v27, 0x1000, v52
	v_add_nc_u32_e32 v71, 0xa00, v52
	s_delay_alu instid0(VALU_DEP_3) | instskip(NEXT) | instid1(VALU_DEP_1)
	v_lshlrev_b64_e32 v[29:30], 3, v[23:24]
	v_add_co_u32 v29, vcc_lo, s4, v29
	s_wait_alu 0xfffd
	s_delay_alu instid0(VALU_DEP_2) | instskip(SKIP_4) | instid1(VALU_DEP_1)
	v_add_co_ci_u32_e32 v30, vcc_lo, s5, v30, vcc_lo
	s_clause 0x1
	global_load_b128 v[34:37], v[29:30], off offset:2496
	global_load_b128 v[38:41], v[29:30], off offset:2512
	v_lshlrev_b32_e32 v23, 2, v82
	v_lshlrev_b64_e32 v[29:30], 3, v[23:24]
	v_lshlrev_b32_e32 v23, 2, v81
	s_delay_alu instid0(VALU_DEP_2) | instskip(SKIP_1) | instid1(VALU_DEP_3)
	v_add_co_u32 v29, vcc_lo, s4, v29
	s_wait_alu 0xfffd
	v_add_co_ci_u32_e32 v30, vcc_lo, s5, v30, vcc_lo
	s_clause 0x1
	global_load_b128 v[42:45], v[29:30], off offset:2496
	global_load_b128 v[46:49], v[29:30], off offset:2512
	v_lshlrev_b64_e32 v[29:30], 3, v[23:24]
	v_lshlrev_b32_e32 v23, 2, v80
	v_add_nc_u32_e32 v25, 0x600, v52
	s_delay_alu instid0(VALU_DEP_3) | instskip(SKIP_1) | instid1(VALU_DEP_4)
	v_add_co_u32 v29, vcc_lo, s4, v29
	s_wait_alu 0xfffd
	v_add_co_ci_u32_e32 v30, vcc_lo, s5, v30, vcc_lo
	s_clause 0x1
	global_load_b128 v[57:60], v[29:30], off offset:2496
	global_load_b128 v[61:64], v[29:30], off offset:2512
	v_lshlrev_b64_e32 v[29:30], 3, v[23:24]
	v_lshlrev_b32_e32 v23, 2, v73
	s_delay_alu instid0(VALU_DEP_2) | instskip(SKIP_1) | instid1(VALU_DEP_3)
	v_add_co_u32 v29, vcc_lo, s4, v29
	s_wait_alu 0xfffd
	v_add_co_ci_u32_e32 v30, vcc_lo, s5, v30, vcc_lo
	s_delay_alu instid0(VALU_DEP_3)
	v_lshlrev_b64_e32 v[23:24], 3, v[23:24]
	s_clause 0x1
	global_load_b128 v[65:68], v[29:30], off offset:2496
	global_load_b128 v[80:83], v[29:30], off offset:2512
	v_add_co_u32 v23, vcc_lo, s4, v23
	s_wait_alu 0xfffd
	v_add_co_ci_u32_e32 v24, vcc_lo, s5, v24, vcc_lo
	s_clause 0x1
	global_load_b128 v[84:87], v[23:24], off offset:2496
	global_load_b128 v[88:91], v[23:24], off offset:2512
	ds_load_b32 v31, v52 offset:6048
	s_wait_loadcnt_dscnt 0x800
	v_dual_mul_f32 v104, v40, v31 :: v_dual_add_nc_u32 v23, 0xc00, v52
	s_delay_alu instid0(VALU_DEP_1)
	v_fmac_f32_e32 v104, v21, v41
	ds_load_2addr_b32 v[23:24], v23 offset0:114 offset1:177
	ds_load_2addr_b32 v[29:30], v25 offset0:120 offset1:183
	;; [unrolled: 1-line block ×3, first 2 shown]
	v_add_nc_u32_e32 v27, 0x400, v52
	v_add_nc_u32_e32 v92, 0xe00, v52
	;; [unrolled: 1-line block ×5, first 2 shown]
	ds_load_b32 v98, v56
	ds_load_b32 v99, v55
	;; [unrolled: 1-line block ×6, first 2 shown]
	ds_load_2addr_b32 v[51:52], v71 offset0:116 offset1:179
	ds_load_2addr_b32 v[53:54], v25 offset0:106 offset1:169
	;; [unrolled: 1-line block ×6, first 2 shown]
	s_wait_dscnt 0xe
	v_mul_f32_e32 v25, v36, v23
	s_wait_dscnt 0xd
	v_mul_f32_e32 v27, v34, v30
	;; [unrolled: 2-line block ×3, first 2 shown]
	v_mul_f32_e32 v30, v35, v30
	s_delay_alu instid0(VALU_DEP_3) | instskip(SKIP_1) | instid1(VALU_DEP_3)
	v_dual_mul_f32 v70, v39, v70 :: v_dual_fmac_f32 v27, v5, v35
	v_mul_f32_e32 v31, v41, v31
	v_fma_f32 v5, v5, v34, -v30
	s_wait_loadcnt_dscnt 0x604
	v_dual_mul_f32 v34, v46, v69 :: v_dual_mul_f32 v35, v48, v54
	v_sub_f32_e32 v106, v27, v104
	v_fma_f32 v30, v21, v40, -v31
	v_fma_f32 v21, v3, v38, -v70
	v_mul_f32_e32 v23, v37, v23
	v_fmac_f32_e32 v25, v8, v37
	s_delay_alu instid0(VALU_DEP_4) | instskip(SKIP_1) | instid1(VALU_DEP_4)
	v_dual_add_f32 v113, v18, v5 :: v_dual_add_f32 v70, v5, v30
	v_fmac_f32_e32 v34, v2, v47
	v_fma_f32 v8, v8, v36, -v23
	v_dual_fmac_f32 v71, v3, v39 :: v_dual_mul_f32 v36, v45, v52
	v_dual_mul_f32 v23, v44, v52 :: v_dual_sub_f32 v40, v5, v30
	s_delay_alu instid0(VALU_DEP_3) | instskip(NEXT) | instid1(VALU_DEP_3)
	v_dual_sub_f32 v110, v5, v8 :: v_dual_mul_f32 v31, v42, v29
	v_dual_sub_f32 v108, v104, v71 :: v_dual_sub_f32 v39, v71, v104
	v_mul_f32_e32 v3, v43, v29
	v_dual_mul_f32 v29, v49, v54 :: v_dual_sub_f32 v52, v8, v21
	v_sub_f32_e32 v54, v8, v5
	v_add_f32_e32 v112, v8, v21
	v_add_f32_e32 v8, v8, v113
	s_delay_alu instid0(VALU_DEP_4)
	v_fma_f32 v29, v15, v48, -v29
	v_fma_f32 v36, v13, v44, -v36
	s_wait_loadcnt 0x4
	v_mul_f32_e32 v48, v64, v53
	v_dual_sub_f32 v38, v25, v27 :: v_dual_add_f32 v41, v27, v104
	v_sub_f32_e32 v107, v27, v25
	v_add_f32_e32 v27, v27, v99
	v_mul_f32_e32 v37, v47, v69
	v_dual_mul_f32 v44, v59, v51 :: v_dual_sub_f32 v111, v30, v21
	v_fmac_f32_e32 v31, v4, v43
	v_fmac_f32_e32 v35, v15, v49
	s_delay_alu instid0(VALU_DEP_4)
	v_fma_f32 v37, v2, v46, -v37
	s_wait_dscnt 0x2
	v_mul_f32_e32 v46, v61, v93
	v_add_f32_e32 v38, v38, v39
	v_fma_f32 v42, v4, v42, -v3
	v_sub_f32_e32 v69, v21, v30
	v_sub_f32_e32 v105, v25, v71
	v_fmac_f32_e32 v23, v13, v45
	v_mul_f32_e32 v43, v57, v56
	v_mul_f32_e32 v13, v60, v51
	v_fma_f32 v4, -0.5, v70, v18
	v_mul_f32_e32 v47, v58, v56
	v_fma_f32 v2, -0.5, v112, v18
	v_dual_mul_f32 v15, v62, v93 :: v_dual_sub_f32 v56, v36, v42
	v_dual_mul_f32 v45, v63, v53 :: v_dual_fmac_f32 v44, v12, v60
	s_wait_loadcnt_dscnt 0x301
	v_mul_f32_e32 v60, v67, v95
	v_add_f32_e32 v70, v42, v29
	v_add_f32_e32 v39, v54, v69
	v_sub_f32_e32 v54, v36, v37
	v_fma_f32 v5, -0.5, v41, v99
	v_dual_fmac_f32 v43, v17, v58 :: v_dual_fmac_f32 v60, v7, v68
	v_add_f32_e32 v49, v110, v111
	v_sub_f32_e32 v110, v42, v36
	v_dual_add_f32 v41, v107, v108 :: v_dual_fmac_f32 v46, v20, v62
	v_fma_f32 v58, v12, v59, -v13
	v_fma_f32 v48, v14, v63, -v48
	s_wait_loadcnt 0x2
	v_mul_f32_e32 v62, v80, v92
	v_dual_fmamk_f32 v12, v105, 0x3f737871, v4 :: v_dual_fmac_f32 v45, v14, v64
	v_mul_f32_e32 v64, v81, v92
	s_wait_dscnt 0x0
	v_mul_f32_e32 v92, v83, v97
	v_fmac_f32_e32 v62, v19, v81
	v_fmamk_f32 v14, v106, 0x3f737871, v2
	v_fmac_f32_e32 v2, 0xbf737871, v106
	v_fma_f32 v59, v20, v61, -v15
	v_mul_f32_e32 v61, v82, v97
	v_dual_add_f32 v109, v25, v71 :: v_dual_sub_f32 v108, v35, v34
	v_dual_mul_f32 v63, v68, v95 :: v_dual_fmac_f32 v12, 0xbf167918, v106
	v_fmac_f32_e32 v4, 0xbf737871, v105
	v_fma_f32 v47, v17, v57, -v47
	v_mul_f32_e32 v57, v65, v55
	v_mul_f32_e32 v55, v66, v55
	v_fma_f32 v19, v19, v80, -v64
	v_fmac_f32_e32 v4, 0x3f167918, v106
	s_wait_loadcnt 0x0
	v_dual_mul_f32 v68, v89, v24 :: v_dual_fmac_f32 v61, v11, v83
	v_fma_f32 v11, v11, v82, -v92
	v_fma_f32 v3, -0.5, v109, v99
	v_sub_f32_e32 v51, v42, v29
	v_add_f32_e32 v53, v31, v35
	v_sub_f32_e32 v69, v37, v29
	v_dual_sub_f32 v99, v31, v35 :: v_dual_sub_f32 v114, v46, v45
	v_dual_sub_f32 v111, v29, v37 :: v_dual_add_f32 v118, v47, v48
	v_add_f32_e32 v112, v36, v37
	v_add_f32_e32 v18, v25, v27
	v_sub_f32_e32 v27, v34, v35
	v_dual_add_f32 v42, v22, v42 :: v_dual_sub_f32 v25, v23, v31
	v_dual_sub_f32 v107, v31, v23 :: v_dual_mul_f32 v64, v84, v98
	v_dual_add_f32 v109, v23, v34 :: v_dual_sub_f32 v116, v58, v47
	v_dual_add_f32 v31, v31, v100 :: v_dual_mul_f32 v80, v85, v98
	v_fmac_f32_e32 v57, v16, v66
	v_fma_f32 v63, v7, v67, -v63
	v_fma_f32 v16, v16, v65, -v55
	v_mul_f32_e32 v65, v86, v94
	v_dual_mul_f32 v55, v87, v94 :: v_dual_fmac_f32 v64, v28, v85
	v_sub_f32_e32 v94, v11, v19
	v_sub_f32_e32 v113, v44, v43
	;; [unrolled: 1-line block ×3, first 2 shown]
	v_dual_add_f32 v71, v71, v18 :: v_dual_fmac_f32 v14, 0x3f167918, v105
	v_fma_f32 v20, -0.5, v70, v22
	v_fma_f32 v18, -0.5, v109, v100
	;; [unrolled: 1-line block ×3, first 2 shown]
	v_dual_add_f32 v95, v8, v21 :: v_dual_sub_f32 v70, v58, v59
	v_sub_f32_e32 v112, v44, v46
	v_fma_f32 v21, -0.5, v53, v100
	v_dual_add_f32 v53, v56, v69 :: v_dual_add_f32 v56, v107, v108
	v_dual_sub_f32 v100, v47, v48 :: v_dual_add_f32 v97, v25, v27
	v_fmac_f32_e32 v2, 0xbf167918, v105
	v_sub_f32_e32 v108, v47, v58
	v_dual_add_f32 v115, v43, v45 :: v_dual_sub_f32 v92, v16, v11
	v_dual_add_f32 v47, v26, v47 :: v_dual_sub_f32 v106, v63, v16
	v_dual_sub_f32 v109, v48, v59 :: v_dual_mul_f32 v66, v90, v96
	v_dual_mul_f32 v81, v91, v96 :: v_dual_sub_f32 v96, v57, v61
	v_dual_add_f32 v27, v23, v31 :: v_dual_add_f32 v82, v113, v114
	v_fmamk_f32 v13, v52, 0xbf737871, v5
	v_dual_fmac_f32 v5, 0x3f737871, v52 :: v_dual_add_f32 v8, v104, v71
	v_dual_add_f32 v31, v36, v42 :: v_dual_sub_f32 v36, v43, v44
	v_dual_sub_f32 v42, v45, v46 :: v_dual_add_f32 v69, v110, v111
	v_dual_add_f32 v110, v58, v59 :: v_dual_fmamk_f32 v15, v40, 0xbf737871, v3
	v_dual_fmac_f32 v3, 0x3f737871, v40 :: v_dual_fmamk_f32 v22, v93, 0x3f737871, v20
	v_sub_f32_e32 v111, v43, v45
	v_add_f32_e32 v43, v43, v101
	v_add_f32_e32 v107, v44, v46
	s_delay_alu instid0(VALU_DEP_4)
	v_dual_fmac_f32 v5, 0xbf167918, v40 :: v_dual_fmac_f32 v22, 0xbf167918, v99
	v_dual_add_f32 v34, v34, v27 :: v_dual_fmac_f32 v13, 0x3f167918, v40
	v_fmac_f32_e32 v20, 0xbf737871, v93
	v_dual_fmac_f32 v15, 0xbf167918, v52 :: v_dual_add_f32 v40, v47, v58
	v_fmamk_f32 v25, v51, 0xbf737871, v18
	v_fmac_f32_e32 v18, 0x3f737871, v51
	v_dual_fmac_f32 v3, 0x3f167918, v52 :: v_dual_add_f32 v52, v36, v42
	v_dual_add_f32 v71, v108, v109 :: v_dual_fmac_f32 v20, 0x3f167918, v99
	v_add_f32_e32 v36, v44, v43
	v_dual_sub_f32 v47, v16, v63 :: v_dual_fmac_f32 v2, 0x3e9e377a, v49
	v_add_f32_e32 v108, v16, v11
	v_add_f32_e32 v16, v33, v16
	v_dual_mul_f32 v67, v88, v24 :: v_dual_sub_f32 v104, v62, v61
	v_fmamk_f32 v24, v99, 0x3f737871, v17
	v_dual_add_f32 v7, v95, v30 :: v_dual_fmac_f32 v12, 0x3e9e377a, v39
	v_fma_f32 v30, -0.5, v110, v26
	v_fma_f32 v26, -0.5, v118, v26
	v_add_f32_e32 v95, v63, v19
	v_dual_sub_f32 v117, v59, v48 :: v_dual_sub_f32 v98, v60, v62
	v_fmamk_f32 v23, v54, 0xbf737871, v21
	v_fmac_f32_e32 v21, 0x3f737871, v54
	v_fma_f32 v27, -0.5, v115, v101
	v_dual_sub_f32 v42, v57, v60 :: v_dual_add_f32 v37, v31, v37
	v_dual_fmac_f32 v4, 0x3e9e377a, v39 :: v_dual_sub_f32 v43, v61, v62
	v_fmac_f32_e32 v14, 0x3e9e377a, v49
	v_sub_f32_e32 v58, v63, v19
	v_fma_f32 v31, -0.5, v107, v101
	v_dual_add_f32 v44, v60, v62 :: v_dual_add_f32 v105, v57, v61
	v_add_f32_e32 v16, v16, v63
	v_fmac_f32_e32 v66, v10, v91
	v_fma_f32 v81, v10, v90, -v81
	v_fmac_f32_e32 v24, 0x3f167918, v93
	v_dual_fmac_f32 v13, 0x3e9e377a, v38 :: v_dual_fmac_f32 v22, 0x3e9e377a, v53
	v_fmac_f32_e32 v5, 0x3e9e377a, v38
	v_add_f32_e32 v10, v35, v34
	s_delay_alu instid0(VALU_DEP_4)
	v_fmac_f32_e32 v24, 0x3e9e377a, v69
	v_fmac_f32_e32 v18, 0x3f167918, v54
	v_dual_fmac_f32 v3, 0x3e9e377a, v41 :: v_dual_add_f32 v16, v16, v19
	v_fmamk_f32 v34, v112, 0x3f737871, v26
	v_dual_add_f32 v40, v40, v59 :: v_dual_fmac_f32 v15, 0x3e9e377a, v41
	v_dual_add_f32 v41, v46, v36 :: v_dual_fmac_f32 v20, 0x3e9e377a, v53
	v_fma_f32 v36, -0.5, v95, v33
	v_fma_f32 v38, -0.5, v108, v33
	v_dual_fmac_f32 v17, 0xbf737871, v99 :: v_dual_fmac_f32 v26, 0xbf737871, v112
	v_fmac_f32_e32 v65, v6, v87
	v_fma_f32 v68, v9, v88, -v68
	v_fma_f32 v80, v28, v84, -v80
	v_dual_sub_f32 v84, v64, v66 :: v_dual_sub_f32 v107, v19, v11
	s_delay_alu instid0(VALU_DEP_4)
	v_sub_f32_e32 v46, v64, v65
	v_dual_fmamk_f32 v28, v111, 0xbf737871, v30 :: v_dual_fmac_f32 v67, v9, v89
	v_dual_add_f32 v9, v37, v29 :: v_dual_fmac_f32 v26, 0x3f167918, v111
	v_fmamk_f32 v29, v100, 0x3f737871, v31
	v_fmac_f32_e32 v31, 0xbf737871, v100
	v_fmac_f32_e32 v30, 0x3f737871, v111
	;; [unrolled: 1-line block ×4, first 2 shown]
	v_fmamk_f32 v35, v70, 0xbf737871, v27
	v_fmac_f32_e32 v27, 0x3f737871, v70
	v_fma_f32 v37, -0.5, v44, v102
	v_fmamk_f32 v44, v98, 0x3f737871, v38
	v_dual_fmac_f32 v38, 0xbf737871, v98 :: v_dual_add_f32 v51, v42, v43
	v_fmamk_f32 v42, v96, 0xbf737871, v36
	v_dual_fmac_f32 v36, 0x3f737871, v96 :: v_dual_add_f32 v83, v116, v117
	v_dual_sub_f32 v101, v60, v57 :: v_dual_fmac_f32 v18, 0x3e9e377a, v56
	v_add_f32_e32 v57, v57, v102
	v_fma_f32 v6, v6, v86, -v55
	v_dual_fmac_f32 v25, 0xbf167918, v54 :: v_dual_fmac_f32 v34, 0xbf167918, v111
	v_dual_fmac_f32 v17, 0xbf167918, v93 :: v_dual_fmac_f32 v44, 0xbf167918, v96
	v_dual_add_f32 v54, v47, v94 :: v_dual_add_f32 v59, v106, v107
	v_fmac_f32_e32 v36, 0x3f167918, v98
	v_add_f32_e32 v85, v64, v66
	v_fmac_f32_e32 v42, 0xbf167918, v98
	v_fmac_f32_e32 v21, 0x3e9e377a, v97
	;; [unrolled: 1-line block ×3, first 2 shown]
	v_dual_fmac_f32 v36, 0x3e9e377a, v54 :: v_dual_add_f32 v33, v60, v57
	v_dual_sub_f32 v57, v6, v68 :: v_dual_fmac_f32 v34, 0x3e9e377a, v83
	v_dual_fmac_f32 v23, 0x3e9e377a, v97 :: v_dual_fmac_f32 v42, 0x3e9e377a, v54
	v_fmac_f32_e32 v44, 0x3e9e377a, v59
	v_fma_f32 v54, -0.5, v85, v103
	v_sub_f32_e32 v60, v80, v81
	v_dual_fmac_f32 v28, 0xbf167918, v112 :: v_dual_sub_f32 v47, v66, v67
	v_fmamk_f32 v43, v92, 0x3f737871, v37
	v_fmac_f32_e32 v38, 0x3f167918, v96
	v_fmac_f32_e32 v25, 0x3e9e377a, v56
	v_fmamk_f32 v56, v57, 0x3f737871, v54
	v_add_f32_e32 v49, v65, v67
	v_fmac_f32_e32 v17, 0x3e9e377a, v69
	v_dual_add_f32 v41, v45, v41 :: v_dual_add_f32 v40, v48, v40
	s_delay_alu instid0(VALU_DEP_4)
	v_fmac_f32_e32 v56, 0xbf167918, v60
	v_fmac_f32_e32 v30, 0x3e9e377a, v71
	v_dual_add_f32 v48, v11, v16 :: v_dual_add_f32 v19, v46, v47
	v_add_f32_e32 v33, v62, v33
	v_dual_sub_f32 v11, v80, v6 :: v_dual_fmac_f32 v54, 0xbf737871, v57
	v_sub_f32_e32 v16, v81, v68
	v_dual_add_f32 v63, v6, v68 :: v_dual_fmac_f32 v26, 0x3e9e377a, v83
	v_fmac_f32_e32 v35, 0x3f167918, v100
	v_fma_f32 v47, -0.5, v49, v103
	v_dual_fmac_f32 v43, 0x3f167918, v58 :: v_dual_fmac_f32 v54, 0x3f167918, v60
	v_add_f32_e32 v49, v61, v33
	v_sub_f32_e32 v33, v65, v64
	v_sub_f32_e32 v53, v67, v66
	v_dual_add_f32 v11, v11, v16 :: v_dual_add_f32 v16, v80, v81
	v_fma_f32 v39, -0.5, v105, v102
	s_delay_alu instid0(VALU_DEP_3)
	v_dual_fmac_f32 v27, 0xbf167918, v100 :: v_dual_add_f32 v62, v33, v53
	v_fma_f32 v46, -0.5, v63, v32
	v_fmac_f32_e32 v35, 0x3e9e377a, v82
	v_fma_f32 v53, -0.5, v16, v32
	v_add_f32_e32 v32, v32, v80
	v_fmac_f32_e32 v37, 0xbf737871, v92
	v_sub_f32_e32 v33, v6, v80
	v_fmamk_f32 v45, v58, 0xbf737871, v39
	v_fmac_f32_e32 v39, 0x3f737871, v58
	v_add_f32_e32 v6, v32, v6
	v_fmac_f32_e32 v37, 0xbf167918, v58
	v_dual_add_f32 v55, v101, v104 :: v_dual_fmac_f32 v28, 0x3e9e377a, v71
	v_dual_fmac_f32 v31, 0xbf167918, v70 :: v_dual_sub_f32 v58, v65, v67
	v_fmac_f32_e32 v43, 0x3e9e377a, v51
	s_delay_alu instid0(VALU_DEP_4)
	v_fmac_f32_e32 v37, 0x3e9e377a, v51
	v_fmamk_f32 v51, v84, 0xbf737871, v46
	v_fmac_f32_e32 v46, 0x3f737871, v84
	v_fmac_f32_e32 v45, 0x3f167918, v92
	;; [unrolled: 1-line block ×8, first 2 shown]
	v_sub_f32_e32 v55, v68, v81
	s_delay_alu instid0(VALU_DEP_4) | instskip(SKIP_2) | instid1(VALU_DEP_4)
	v_dual_fmac_f32 v29, 0x3e9e377a, v52 :: v_dual_fmac_f32 v46, 0x3e9e377a, v11
	v_fmac_f32_e32 v51, 0xbf167918, v58
	v_fmac_f32_e32 v56, 0x3e9e377a, v62
	v_add_f32_e32 v16, v33, v55
	v_add_f32_e32 v33, v64, v103
	v_fmamk_f32 v55, v58, 0xbf737871, v53
	v_fmac_f32_e32 v51, 0x3e9e377a, v11
	v_fmac_f32_e32 v53, 0x3f737871, v58
	s_delay_alu instid0(VALU_DEP_4)
	v_dual_fmac_f32 v54, 0x3e9e377a, v62 :: v_dual_add_f32 v59, v65, v33
	v_mad_co_u64_u32 v[32:33], null, s8, v73, 0
	v_fmac_f32_e32 v31, 0x3e9e377a, v52
	v_fmamk_f32 v52, v60, 0x3f737871, v47
	v_fmac_f32_e32 v47, 0xbf737871, v60
	v_add_f32_e32 v11, v67, v59
	v_fmac_f32_e32 v55, 0x3f167918, v84
	v_fmac_f32_e32 v53, 0xbf167918, v84
	;; [unrolled: 1-line block ×4, first 2 shown]
	v_mad_co_u64_u32 v[57:58], null, s8, v79, 0
	v_add_f32_e32 v61, v66, v11
	s_delay_alu instid0(VALU_DEP_4) | instskip(NEXT) | instid1(VALU_DEP_4)
	v_fmac_f32_e32 v52, 0x3e9e377a, v19
	v_fmac_f32_e32 v47, 0x3e9e377a, v19
	v_dual_add_f32 v19, v6, v68 :: v_dual_mov_b32 v6, v33
	v_add_nc_u32_e32 v11, 0x276, v73
	v_fmac_f32_e32 v55, 0x3e9e377a, v16
	v_fmac_f32_e32 v53, 0x3e9e377a, v16
	v_add_nc_u32_e32 v16, 0x3b1, v73
	v_mad_co_u64_u32 v[59:60], null, s9, v73, v[6:7]
	v_mad_co_u64_u32 v[62:63], null, s8, v11, 0
	v_mov_b32_e32 v6, v58
	v_add_co_u32 v68, vcc_lo, s10, v0
	v_dual_fmac_f32 v27, 0x3e9e377a, v82 :: v_dual_add_f32 v60, v81, v19
	v_mov_b32_e32 v33, v59
	s_delay_alu instid0(VALU_DEP_4)
	v_mad_co_u64_u32 v[58:59], null, s9, v79, v[6:7]
	v_mov_b32_e32 v6, v63
	s_wait_alu 0xfffd
	v_add_co_ci_u32_e32 v69, vcc_lo, s11, v1, vcc_lo
	v_lshlrev_b64_e32 v[0:1], 3, v[32:33]
	v_mad_co_u64_u32 v[32:33], null, s8, v16, 0
	v_add_nc_u32_e32 v19, 0x4ec, v73
	v_mad_co_u64_u32 v[63:64], null, s9, v11, v[6:7]
	v_lshlrev_b64_e32 v[57:58], 3, v[57:58]
	v_add_co_u32 v0, vcc_lo, v68, v0
	s_delay_alu instid0(VALU_DEP_4) | instskip(SKIP_4) | instid1(VALU_DEP_3)
	v_mad_co_u64_u32 v[64:65], null, s8, v19, 0
	v_mov_b32_e32 v6, v33
	s_wait_alu 0xfffd
	v_add_co_ci_u32_e32 v1, vcc_lo, v69, v1, vcc_lo
	v_add_co_u32 v57, vcc_lo, v68, v57
	v_mad_co_u64_u32 v[66:67], null, s9, v16, v[6:7]
	v_mov_b32_e32 v6, v65
	s_wait_alu 0xfffd
	v_add_co_ci_u32_e32 v58, vcc_lo, v69, v58, vcc_lo
	s_clause 0x1
	global_store_b64 v[0:1], v[60:61], off
	global_store_b64 v[57:58], v[46:47], off
	v_mad_co_u64_u32 v[46:47], null, s9, v19, v[6:7]
	v_mad_co_u64_u32 v[57:58], null, s8, v78, 0
	v_mov_b32_e32 v33, v66
	v_lshlrev_b64_e32 v[0:1], 3, v[62:63]
	v_add_nc_u32_e32 v11, 0x2b5, v73
	v_dual_mov_b32 v65, v46 :: v_dual_add_nc_u32 v16, 0x3f0, v73
	v_mad_co_u64_u32 v[46:47], null, s8, v77, 0
	v_mov_b32_e32 v6, v58
	v_lshlrev_b64_e32 v[32:33], 3, v[32:33]
	v_add_co_u32 v0, vcc_lo, v68, v0
	v_lshlrev_b64_e32 v[58:59], 3, v[64:65]
	s_delay_alu instid0(VALU_DEP_4) | instskip(SKIP_4) | instid1(VALU_DEP_3)
	v_mad_co_u64_u32 v[60:61], null, s9, v78, v[6:7]
	v_mov_b32_e32 v6, v47
	s_wait_alu 0xfffd
	v_add_co_ci_u32_e32 v1, vcc_lo, v69, v1, vcc_lo
	v_add_co_u32 v32, vcc_lo, v68, v32
	v_mad_co_u64_u32 v[63:64], null, s9, v77, v[6:7]
	v_mad_co_u64_u32 v[64:65], null, s8, v11, 0
	s_wait_alu 0xfffd
	v_add_co_ci_u32_e32 v33, vcc_lo, v69, v33, vcc_lo
	v_add_co_u32 v61, vcc_lo, v68, v58
	s_wait_alu 0xfffd
	v_add_co_ci_u32_e32 v62, vcc_lo, v69, v59, vcc_lo
	v_mov_b32_e32 v58, v60
	v_mov_b32_e32 v6, v65
	s_clause 0x2
	global_store_b64 v[0:1], v[55:56], off
	global_store_b64 v[32:33], v[53:54], off
	;; [unrolled: 1-line block ×3, first 2 shown]
	v_mad_co_u64_u32 v[32:33], null, s8, v16, 0
	v_add_nc_u32_e32 v19, 0x52b, v73
	v_mov_b32_e32 v47, v63
	v_lshlrev_b64_e32 v[0:1], 3, v[57:58]
	v_mad_co_u64_u32 v[51:52], null, s9, v11, v[6:7]
	s_delay_alu instid0(VALU_DEP_4) | instskip(NEXT) | instid1(VALU_DEP_4)
	v_mad_co_u64_u32 v[52:53], null, s8, v19, 0
	v_lshlrev_b64_e32 v[46:47], 3, v[46:47]
	v_mov_b32_e32 v6, v33
	v_add_co_u32 v0, vcc_lo, v68, v0
	s_wait_alu 0xfffd
	v_add_co_ci_u32_e32 v1, vcc_lo, v69, v1, vcc_lo
	s_delay_alu instid0(VALU_DEP_4)
	v_add_co_u32 v46, vcc_lo, v68, v46
	v_mad_co_u64_u32 v[54:55], null, s9, v16, v[6:7]
	v_mov_b32_e32 v6, v53
	s_wait_alu 0xfffd
	v_add_co_ci_u32_e32 v47, vcc_lo, v69, v47, vcc_lo
	s_clause 0x1
	global_store_b64 v[0:1], v[48:49], off
	global_store_b64 v[46:47], v[36:37], off
	v_mad_co_u64_u32 v[36:37], null, s9, v19, v[6:7]
	v_mov_b32_e32 v65, v51
	v_mad_co_u64_u32 v[46:47], null, s8, v76, 0
	v_mov_b32_e32 v33, v54
	v_add_nc_u32_e32 v11, 0x2f4, v73
	s_delay_alu instid0(VALU_DEP_4)
	v_lshlrev_b64_e32 v[0:1], 3, v[64:65]
	v_mov_b32_e32 v53, v36
	v_mad_co_u64_u32 v[36:37], null, s8, v75, 0
	v_lshlrev_b64_e32 v[32:33], 3, v[32:33]
	v_mov_b32_e32 v6, v47
	v_add_co_u32 v0, vcc_lo, v68, v0
	v_lshlrev_b64_e32 v[47:48], 3, v[52:53]
	s_wait_alu 0xfffd
	v_add_co_ci_u32_e32 v1, vcc_lo, v69, v1, vcc_lo
	v_add_co_u32 v32, vcc_lo, v68, v32
	v_mad_co_u64_u32 v[51:52], null, s9, v76, v[6:7]
	v_mov_b32_e32 v6, v37
	v_mad_co_u64_u32 v[54:55], null, s8, v11, 0
	s_wait_alu 0xfffd
	v_add_co_ci_u32_e32 v33, vcc_lo, v69, v33, vcc_lo
	v_add_co_u32 v52, vcc_lo, v68, v47
	v_add_nc_u32_e32 v16, 0x42f, v73
	s_wait_alu 0xfffd
	v_add_co_ci_u32_e32 v53, vcc_lo, v69, v48, vcc_lo
	v_mad_co_u64_u32 v[48:49], null, s9, v75, v[6:7]
	s_clause 0x2
	global_store_b64 v[0:1], v[38:39], off
	global_store_b64 v[32:33], v[44:45], off
	global_store_b64 v[52:53], v[42:43], off
	v_mov_b32_e32 v6, v55
	v_mad_co_u64_u32 v[32:33], null, s8, v16, 0
	v_mov_b32_e32 v47, v51
	v_add_nc_u32_e32 v19, 0x56a, v73
	v_mov_b32_e32 v37, v48
	v_mad_co_u64_u32 v[38:39], null, s9, v11, v[6:7]
	s_delay_alu instid0(VALU_DEP_4) | instskip(SKIP_3) | instid1(VALU_DEP_4)
	v_lshlrev_b64_e32 v[0:1], 3, v[46:47]
	v_mov_b32_e32 v6, v33
	v_mad_co_u64_u32 v[42:43], null, s8, v19, 0
	v_lshlrev_b64_e32 v[36:37], 3, v[36:37]
	v_add_co_u32 v0, vcc_lo, v68, v0
	v_mov_b32_e32 v55, v38
	v_mad_co_u64_u32 v[38:39], null, s9, v16, v[6:7]
	s_wait_alu 0xfffd
	v_add_co_ci_u32_e32 v1, vcc_lo, v69, v1, vcc_lo
	v_add_co_u32 v36, vcc_lo, v68, v36
	v_mov_b32_e32 v6, v43
	s_wait_alu 0xfffd
	v_add_co_ci_u32_e32 v37, vcc_lo, v69, v37, vcc_lo
	s_clause 0x1
	global_store_b64 v[0:1], v[40:41], off
	global_store_b64 v[36:37], v[30:31], off
	v_mad_co_u64_u32 v[30:31], null, s9, v19, v[6:7]
	v_mov_b32_e32 v33, v38
	v_lshlrev_b64_e32 v[0:1], 3, v[54:55]
	v_mad_co_u64_u32 v[36:37], null, s8, v74, 0
	v_mad_co_u64_u32 v[38:39], null, s8, v50, 0
	s_delay_alu instid0(VALU_DEP_4) | instskip(NEXT) | instid1(VALU_DEP_4)
	v_lshlrev_b64_e32 v[31:32], 3, v[32:33]
	v_add_co_u32 v0, vcc_lo, v68, v0
	v_mov_b32_e32 v43, v30
	s_wait_alu 0xfffd
	v_add_co_ci_u32_e32 v1, vcc_lo, v69, v1, vcc_lo
	s_delay_alu instid0(VALU_DEP_4)
	v_add_co_u32 v30, vcc_lo, v68, v31
	s_wait_alu 0xfffd
	v_add_co_ci_u32_e32 v31, vcc_lo, v69, v32, vcc_lo
	v_lshlrev_b64_e32 v[32:33], 3, v[42:43]
	v_mov_b32_e32 v6, v37
	s_clause 0x1
	global_store_b64 v[0:1], v[26:27], off
	global_store_b64 v[30:31], v[34:35], off
	v_add_nc_u32_e32 v16, 0x333, v73
	v_dual_mov_b32 v0, v39 :: v_dual_add_nc_u32 v19, 0x46e, v73
	v_mad_co_u64_u32 v[40:41], null, s9, v74, v[6:7]
	v_add_co_u32 v26, vcc_lo, v68, v32
	s_wait_alu 0xfffd
	v_add_co_ci_u32_e32 v27, vcc_lo, v69, v33, vcc_lo
	v_mad_co_u64_u32 v[30:31], null, s8, v19, 0
	s_delay_alu instid0(VALU_DEP_4)
	v_mov_b32_e32 v37, v40
	global_store_b64 v[26:27], v[28:29], off
	v_mad_co_u64_u32 v[28:29], null, s8, v16, 0
	v_mad_co_u64_u32 v[0:1], null, s9, v50, v[0:1]
	v_lshlrev_b64_e32 v[26:27], 3, v[36:37]
	v_mul_hi_u32 v35, 0xa01a01a1, v72
	v_dual_mov_b32 v11, v31 :: v_dual_add_nc_u32 v36, 0x5a9, v73
	s_delay_alu instid0(VALU_DEP_4) | instskip(NEXT) | instid1(VALU_DEP_4)
	v_dual_mov_b32 v6, v29 :: v_dual_mov_b32 v39, v0
	v_add_co_u32 v0, vcc_lo, v68, v26
	s_delay_alu instid0(VALU_DEP_2)
	v_mad_co_u64_u32 v[31:32], null, s9, v16, v[6:7]
	s_wait_alu 0xfffd
	v_add_co_ci_u32_e32 v1, vcc_lo, v69, v27, vcc_lo
	v_mad_co_u64_u32 v[32:33], null, s9, v19, v[11:12]
	v_sub_nc_u32_e32 v6, v72, v35
	v_mad_co_u64_u32 v[33:34], null, s8, v36, 0
	global_store_b64 v[0:1], v[9:10], off
	v_lshlrev_b64_e32 v[26:27], 3, v[38:39]
	v_lshrrev_b32_e32 v1, 1, v6
	v_mov_b32_e32 v29, v31
	v_dual_mov_b32 v31, v32 :: v_dual_mov_b32 v0, v34
	s_delay_alu instid0(VALU_DEP_3)
	v_add_nc_u32_e32 v6, v1, v35
	v_add_co_u32 v26, vcc_lo, v68, v26
	s_wait_alu 0xfffd
	v_add_co_ci_u32_e32 v27, vcc_lo, v69, v27, vcc_lo
	v_mad_co_u64_u32 v[0:1], null, s9, v36, v[0:1]
	v_lshrrev_b32_e32 v1, 8, v6
	v_lshlrev_b64_e32 v[9:10], 3, v[28:29]
	global_store_b64 v[26:27], v[24:25], off
	v_lshlrev_b64_e32 v[24:25], 3, v[30:31]
	v_mad_u32_u24 v11, 0x4ec, v1, v72
	v_mov_b32_e32 v34, v0
	v_add_co_u32 v9, vcc_lo, v68, v9
	s_wait_alu 0xfffd
	v_add_co_ci_u32_e32 v10, vcc_lo, v69, v10, vcc_lo
	v_add_nc_u32_e32 v16, 0x13b, v11
	v_add_co_u32 v24, vcc_lo, v68, v24
	s_wait_alu 0xfffd
	v_add_co_ci_u32_e32 v25, vcc_lo, v69, v25, vcc_lo
	global_store_b64 v[9:10], v[20:21], off
	v_add_nc_u32_e32 v27, 0x276, v11
	v_mad_co_u64_u32 v[19:20], null, s8, v16, 0
	v_mad_co_u64_u32 v[0:1], null, s8, v11, 0
	global_store_b64 v[24:25], v[22:23], off
	v_mad_co_u64_u32 v[21:22], null, s8, v27, 0
	v_add_nc_u32_e32 v30, 0x3b1, v11
	v_mov_b32_e32 v6, v20
	v_lshlrev_b64_e32 v[9:10], 3, v[33:34]
	v_mad_co_u64_u32 v[23:24], null, s9, v11, v[1:2]
	s_delay_alu instid0(VALU_DEP_3) | instskip(SKIP_4) | instid1(VALU_DEP_4)
	v_mad_co_u64_u32 v[24:25], null, s9, v16, v[6:7]
	v_mov_b32_e32 v1, v22
	v_mad_co_u64_u32 v[25:26], null, s8, v30, 0
	v_add_nc_u32_e32 v16, 0x4ec, v11
	v_add_co_u32 v9, vcc_lo, v68, v9
	v_mad_co_u64_u32 v[27:28], null, s9, v27, v[1:2]
	s_delay_alu instid0(VALU_DEP_3)
	v_mad_co_u64_u32 v[28:29], null, s8, v16, 0
	s_wait_alu 0xfffd
	v_add_co_ci_u32_e32 v10, vcc_lo, v69, v10, vcc_lo
	v_dual_mov_b32 v6, v26 :: v_dual_mov_b32 v1, v23
	v_mov_b32_e32 v20, v24
	global_store_b64 v[9:10], v[17:18], off
	v_mov_b32_e32 v22, v27
	v_mad_co_u64_u32 v[9:10], null, s9, v30, v[6:7]
	v_mov_b32_e32 v6, v29
	v_lshlrev_b64_e32 v[0:1], 3, v[0:1]
	v_lshlrev_b64_e32 v[10:11], 3, v[19:20]
	s_delay_alu instid0(VALU_DEP_3) | instskip(SKIP_1) | instid1(VALU_DEP_4)
	v_mad_co_u64_u32 v[16:17], null, s9, v16, v[6:7]
	v_mov_b32_e32 v26, v9
	v_add_co_u32 v0, vcc_lo, v68, v0
	v_lshlrev_b64_e32 v[17:18], 3, v[21:22]
	s_wait_alu 0xfffd
	v_add_co_ci_u32_e32 v1, vcc_lo, v69, v1, vcc_lo
	v_mov_b32_e32 v29, v16
	v_add_co_u32 v9, vcc_lo, v68, v10
	v_lshlrev_b64_e32 v[19:20], 3, v[25:26]
	s_wait_alu 0xfffd
	v_add_co_ci_u32_e32 v10, vcc_lo, v69, v11, vcc_lo
	v_add_co_u32 v16, vcc_lo, v68, v17
	v_lshlrev_b64_e32 v[21:22], 3, v[28:29]
	s_wait_alu 0xfffd
	v_add_co_ci_u32_e32 v17, vcc_lo, v69, v18, vcc_lo
	v_add_co_u32 v18, vcc_lo, v68, v19
	s_wait_alu 0xfffd
	v_add_co_ci_u32_e32 v19, vcc_lo, v69, v20, vcc_lo
	v_add_co_u32 v20, vcc_lo, v68, v21
	s_wait_alu 0xfffd
	v_add_co_ci_u32_e32 v21, vcc_lo, v69, v22, vcc_lo
	s_clause 0x4
	global_store_b64 v[0:1], v[7:8], off
	global_store_b64 v[9:10], v[14:15], off
	;; [unrolled: 1-line block ×5, first 2 shown]
.LBB0_37:
	s_nop 0
	s_sendmsg sendmsg(MSG_DEALLOC_VGPRS)
	s_endpgm
	.section	.rodata,"a",@progbits
	.p2align	6, 0x0
	.amdhsa_kernel fft_rtc_fwd_len1575_factors_3_3_5_7_5_wgs_63_tpt_63_halfLds_sp_ip_CI_sbrr_dirReg
		.amdhsa_group_segment_fixed_size 0
		.amdhsa_private_segment_fixed_size 0
		.amdhsa_kernarg_size 88
		.amdhsa_user_sgpr_count 2
		.amdhsa_user_sgpr_dispatch_ptr 0
		.amdhsa_user_sgpr_queue_ptr 0
		.amdhsa_user_sgpr_kernarg_segment_ptr 1
		.amdhsa_user_sgpr_dispatch_id 0
		.amdhsa_user_sgpr_private_segment_size 0
		.amdhsa_wavefront_size32 1
		.amdhsa_uses_dynamic_stack 0
		.amdhsa_enable_private_segment 0
		.amdhsa_system_sgpr_workgroup_id_x 1
		.amdhsa_system_sgpr_workgroup_id_y 0
		.amdhsa_system_sgpr_workgroup_id_z 0
		.amdhsa_system_sgpr_workgroup_info 0
		.amdhsa_system_vgpr_workitem_id 0
		.amdhsa_next_free_vgpr 156
		.amdhsa_next_free_sgpr 35
		.amdhsa_reserve_vcc 1
		.amdhsa_float_round_mode_32 0
		.amdhsa_float_round_mode_16_64 0
		.amdhsa_float_denorm_mode_32 3
		.amdhsa_float_denorm_mode_16_64 3
		.amdhsa_fp16_overflow 0
		.amdhsa_workgroup_processor_mode 1
		.amdhsa_memory_ordered 1
		.amdhsa_forward_progress 0
		.amdhsa_round_robin_scheduling 0
		.amdhsa_exception_fp_ieee_invalid_op 0
		.amdhsa_exception_fp_denorm_src 0
		.amdhsa_exception_fp_ieee_div_zero 0
		.amdhsa_exception_fp_ieee_overflow 0
		.amdhsa_exception_fp_ieee_underflow 0
		.amdhsa_exception_fp_ieee_inexact 0
		.amdhsa_exception_int_div_zero 0
	.end_amdhsa_kernel
	.text
.Lfunc_end0:
	.size	fft_rtc_fwd_len1575_factors_3_3_5_7_5_wgs_63_tpt_63_halfLds_sp_ip_CI_sbrr_dirReg, .Lfunc_end0-fft_rtc_fwd_len1575_factors_3_3_5_7_5_wgs_63_tpt_63_halfLds_sp_ip_CI_sbrr_dirReg
                                        ; -- End function
	.section	.AMDGPU.csdata,"",@progbits
; Kernel info:
; codeLenInByte = 19460
; NumSgprs: 37
; NumVgprs: 156
; ScratchSize: 0
; MemoryBound: 0
; FloatMode: 240
; IeeeMode: 1
; LDSByteSize: 0 bytes/workgroup (compile time only)
; SGPRBlocks: 4
; VGPRBlocks: 19
; NumSGPRsForWavesPerEU: 37
; NumVGPRsForWavesPerEU: 156
; Occupancy: 9
; WaveLimiterHint : 1
; COMPUTE_PGM_RSRC2:SCRATCH_EN: 0
; COMPUTE_PGM_RSRC2:USER_SGPR: 2
; COMPUTE_PGM_RSRC2:TRAP_HANDLER: 0
; COMPUTE_PGM_RSRC2:TGID_X_EN: 1
; COMPUTE_PGM_RSRC2:TGID_Y_EN: 0
; COMPUTE_PGM_RSRC2:TGID_Z_EN: 0
; COMPUTE_PGM_RSRC2:TIDIG_COMP_CNT: 0
	.text
	.p2alignl 7, 3214868480
	.fill 96, 4, 3214868480
	.type	__hip_cuid_9b98935ce6475dc5,@object ; @__hip_cuid_9b98935ce6475dc5
	.section	.bss,"aw",@nobits
	.globl	__hip_cuid_9b98935ce6475dc5
__hip_cuid_9b98935ce6475dc5:
	.byte	0                               ; 0x0
	.size	__hip_cuid_9b98935ce6475dc5, 1

	.ident	"AMD clang version 19.0.0git (https://github.com/RadeonOpenCompute/llvm-project roc-6.4.0 25133 c7fe45cf4b819c5991fe208aaa96edf142730f1d)"
	.section	".note.GNU-stack","",@progbits
	.addrsig
	.addrsig_sym __hip_cuid_9b98935ce6475dc5
	.amdgpu_metadata
---
amdhsa.kernels:
  - .args:
      - .actual_access:  read_only
        .address_space:  global
        .offset:         0
        .size:           8
        .value_kind:     global_buffer
      - .offset:         8
        .size:           8
        .value_kind:     by_value
      - .actual_access:  read_only
        .address_space:  global
        .offset:         16
        .size:           8
        .value_kind:     global_buffer
      - .actual_access:  read_only
        .address_space:  global
        .offset:         24
        .size:           8
        .value_kind:     global_buffer
      - .offset:         32
        .size:           8
        .value_kind:     by_value
      - .actual_access:  read_only
        .address_space:  global
        .offset:         40
        .size:           8
        .value_kind:     global_buffer
      - .actual_access:  read_only
        .address_space:  global
        .offset:         48
        .size:           8
        .value_kind:     global_buffer
      - .offset:         56
        .size:           4
        .value_kind:     by_value
      - .actual_access:  read_only
        .address_space:  global
        .offset:         64
        .size:           8
        .value_kind:     global_buffer
      - .actual_access:  read_only
        .address_space:  global
        .offset:         72
        .size:           8
        .value_kind:     global_buffer
      - .address_space:  global
        .offset:         80
        .size:           8
        .value_kind:     global_buffer
    .group_segment_fixed_size: 0
    .kernarg_segment_align: 8
    .kernarg_segment_size: 88
    .language:       OpenCL C
    .language_version:
      - 2
      - 0
    .max_flat_workgroup_size: 63
    .name:           fft_rtc_fwd_len1575_factors_3_3_5_7_5_wgs_63_tpt_63_halfLds_sp_ip_CI_sbrr_dirReg
    .private_segment_fixed_size: 0
    .sgpr_count:     37
    .sgpr_spill_count: 0
    .symbol:         fft_rtc_fwd_len1575_factors_3_3_5_7_5_wgs_63_tpt_63_halfLds_sp_ip_CI_sbrr_dirReg.kd
    .uniform_work_group_size: 1
    .uses_dynamic_stack: false
    .vgpr_count:     156
    .vgpr_spill_count: 0
    .wavefront_size: 32
    .workgroup_processor_mode: 1
amdhsa.target:   amdgcn-amd-amdhsa--gfx1201
amdhsa.version:
  - 1
  - 2
...

	.end_amdgpu_metadata
